;; amdgpu-corpus repo=ROCm/rocFFT kind=compiled arch=gfx950 opt=O3
	.text
	.amdgcn_target "amdgcn-amd-amdhsa--gfx950"
	.amdhsa_code_object_version 6
	.protected	bluestein_single_back_len2000_dim1_dp_op_CI_CI ; -- Begin function bluestein_single_back_len2000_dim1_dp_op_CI_CI
	.globl	bluestein_single_back_len2000_dim1_dp_op_CI_CI
	.p2align	8
	.type	bluestein_single_back_len2000_dim1_dp_op_CI_CI,@function
bluestein_single_back_len2000_dim1_dp_op_CI_CI: ; @bluestein_single_back_len2000_dim1_dp_op_CI_CI
; %bb.0:
	s_load_dwordx4 s[8:11], s[0:1], 0x28
	v_mul_u32_u24_e32 v1, 0x20d, v0
	v_mov_b32_e32 v225, 0
	v_add_u32_sdwa v6, s2, v1 dst_sel:DWORD dst_unused:UNUSED_PAD src0_sel:DWORD src1_sel:WORD_1
	v_mov_b32_e32 v7, v225
	s_waitcnt lgkmcnt(0)
	v_cmp_gt_u64_e32 vcc, s[8:9], v[6:7]
	s_and_saveexec_b64 s[2:3], vcc
	s_cbranch_execz .LBB0_31
; %bb.1:
	s_load_dwordx4 s[4:7], s[0:1], 0x18
	s_load_dwordx2 s[12:13], s[0:1], 0x0
	v_mov_b32_e32 v2, s10
	v_mov_b32_e32 v3, s11
	s_movk_i32 s2, 0x7d
	s_waitcnt lgkmcnt(0)
	s_load_dwordx4 s[8:11], s[4:5], 0x0
	v_mul_lo_u16_sdwa v1, v1, s2 dst_sel:DWORD dst_unused:UNUSED_PAD src0_sel:WORD_1 src1_sel:DWORD
	v_sub_u16_e32 v224, v0, v1
	v_accvgpr_write_b32 a58, v6
	v_lshlrev_b32_e32 v100, 4, v224
	s_waitcnt lgkmcnt(0)
	v_mad_u64_u32 v[0:1], s[2:3], s10, v6, 0
	v_mov_b32_e32 v4, v1
	v_mad_u64_u32 v[4:5], s[2:3], s11, v6, v[4:5]
	v_mov_b32_e32 v1, v4
	v_mad_u64_u32 v[4:5], s[2:3], s8, v224, 0
	v_mov_b32_e32 v6, v5
	v_mad_u64_u32 v[6:7], s[2:3], s9, v224, v[6:7]
	s_mul_i32 s2, s9, 0x190
	s_mul_hi_u32 s3, s8, 0x190
	v_mov_b32_e32 v5, v6
	v_lshl_add_u64 v[0:1], v[0:1], 4, v[2:3]
	v_mov_b32_e32 v101, v225
	s_add_i32 s3, s3, s2
	s_mul_i32 s2, s8, 0x190
	v_lshl_add_u64 v[8:9], v[4:5], 4, v[0:1]
	v_lshl_add_u64 v[102:103], s[12:13], 0, v[100:101]
	s_lshl_b64 s[10:11], s[2:3], 4
	s_movk_i32 s2, 0x1000
	global_load_dwordx4 v[104:107], v100, s[12:13]
	v_lshl_add_u64 v[10:11], v[8:9], 0, s[10:11]
	global_load_dwordx4 v[4:7], v[8:9], off
	global_load_dwordx4 v[0:3], v[10:11], off
	v_add_co_u32_e32 v8, vcc, s2, v102
	s_movk_i32 s2, 0x3000
	s_nop 0
	v_addc_co_u32_e32 v9, vcc, 0, v103, vcc
	v_add_co_u32_e32 v26, vcc, s2, v102
	s_movk_i32 s2, 0x4000
	s_nop 0
	v_addc_co_u32_e32 v27, vcc, 0, v103, vcc
	;; [unrolled: 4-line block ×3, first 2 shown]
	global_load_dwordx4 v[74:77], v[8:9], off offset:2304
	v_add_co_u32_e32 v24, vcc, s2, v102
	v_lshl_add_u64 v[12:13], v[10:11], 0, s[10:11]
	s_nop 0
	v_addc_co_u32_e32 v25, vcc, 0, v103, vcc
	global_load_dwordx4 v[86:89], v[24:25], off offset:1024
	global_load_dwordx4 v[8:11], v[12:13], off
	global_load_dwordx4 v[82:85], v[26:27], off offset:512
	global_load_dwordx4 v[78:81], v[28:29], off offset:2816
	v_lshl_add_u64 v[16:17], v[12:13], 0, s[10:11]
	s_mul_hi_u32 s3, s8, 0xfffffa3d
	global_load_dwordx4 v[12:15], v[16:17], off
	s_mul_i32 s2, s9, 0xfffffa3d
	s_sub_i32 s3, s3, s8
	v_lshl_add_u64 v[20:21], v[16:17], 0, s[10:11]
	s_add_i32 s15, s3, s2
	s_mul_i32 s14, s8, 0xfffffa3d
	global_load_dwordx4 v[16:19], v[20:21], off
	s_lshl_b64 s[2:3], s[14:15], 4
	v_lshl_add_u64 v[30:31], v[20:21], 0, s[2:3]
	s_movk_i32 s4, 0x2000
	global_load_dwordx4 v[20:23], v[30:31], off
	global_load_dwordx4 v[90:93], v100, s[12:13] offset:2000
	v_add_co_u32_e32 v32, vcc, s4, v102
	v_lshl_add_u64 v[30:31], v[30:31], 0, s[10:11]
	s_nop 0
	v_addc_co_u32_e32 v33, vcc, 0, v103, vcc
	global_load_dwordx4 v[34:37], v[30:31], off
	global_load_dwordx4 v[94:97], v[32:33], off offset:208
	v_lshl_add_u64 v[30:31], v[30:31], 0, s[10:11]
	s_movk_i32 s4, 0x5000
	global_load_dwordx4 v[38:41], v[30:31], off
	global_load_dwordx4 v[108:111], v[26:27], off offset:2512
	v_add_co_u32_e32 v66, vcc, s4, v102
	v_lshl_add_u64 v[30:31], v[30:31], 0, s[10:11]
	s_nop 0
	v_addc_co_u32_e32 v67, vcc, 0, v103, vcc
	global_load_dwordx4 v[42:45], v[30:31], off
	global_load_dwordx4 v[112:115], v[66:67], off offset:720
	v_lshl_add_u64 v[30:31], v[30:31], 0, s[10:11]
	global_load_dwordx4 v[46:49], v[30:31], off
	global_load_dwordx4 v[116:119], v[24:25], off offset:3024
	v_lshl_add_u64 v[30:31], v[30:31], 0, s[2:3]
	global_load_dwordx4 v[50:53], v[30:31], off
	global_load_dwordx4 v[120:123], v100, s[12:13] offset:4000
	v_lshl_add_u64 v[30:31], v[30:31], 0, s[10:11]
	global_load_dwordx4 v[54:57], v[30:31], off
	global_load_dwordx4 v[124:127], v[32:33], off offset:2208
	v_lshl_add_u64 v[30:31], v[30:31], 0, s[10:11]
	global_load_dwordx4 v[58:61], v[30:31], off
	global_load_dwordx4 v[128:131], v[28:29], off offset:416
	v_lshl_add_u64 v[30:31], v[30:31], 0, s[10:11]
	s_movk_i32 s2, 0x7000
	global_load_dwordx4 v[62:65], v[30:31], off
	global_load_dwordx4 v[132:135], v[66:67], off offset:2720
	v_lshl_add_u64 v[32:33], v[30:31], 0, s[10:11]
	v_add_co_u32_e32 v30, vcc, s2, v102
	global_load_dwordx4 v[66:69], v[32:33], off
	s_nop 0
	v_addc_co_u32_e32 v31, vcc, 0, v103, vcc
	global_load_dwordx4 v[136:139], v[30:31], off offset:928
	s_load_dwordx2 s[8:9], s[0:1], 0x38
	s_nop 0
	s_load_dwordx4 s[4:7], s[6:7], 0x0
	v_cmp_gt_u16_e64 s[2:3], 25, v224
	s_waitcnt vmcnt(29)
	v_accvgpr_write_b32 a26, v104
	s_waitcnt vmcnt(28)
	v_mul_f64 v[70:71], v[6:7], v[106:107]
	v_fmac_f64_e32 v[70:71], v[4:5], v[104:105]
	v_mul_f64 v[4:5], v[4:5], v[106:107]
	v_fma_f64 v[72:73], v[6:7], v[104:105], -v[4:5]
	v_accvgpr_write_b32 a27, v105
	v_accvgpr_write_b32 a28, v106
	;; [unrolled: 1-line block ×3, first 2 shown]
	ds_write_b128 v100, v[70:73]
	s_waitcnt vmcnt(26)
	v_mul_f64 v[4:5], v[2:3], v[76:77]
	v_fmac_f64_e32 v[4:5], v[0:1], v[74:75]
	v_mul_f64 v[0:1], v[0:1], v[76:77]
	v_fma_f64 v[6:7], v[2:3], v[74:75], -v[0:1]
	v_accvgpr_write_b32 a0, v74
	v_accvgpr_write_b32 a1, v75
	s_waitcnt vmcnt(25)
	v_accvgpr_write_b32 a14, v86
	v_accvgpr_write_b32 a2, v76
	s_waitcnt vmcnt(23)
	v_mul_f64 v[0:1], v[10:11], v[84:85]
	v_mul_f64 v[2:3], v[8:9], v[84:85]
	v_fmac_f64_e32 v[0:1], v[8:9], v[82:83]
	v_fma_f64 v[2:3], v[10:11], v[82:83], -v[2:3]
	ds_write_b128 v100, v[0:3] offset:12800
	s_waitcnt vmcnt(21)
	v_mul_f64 v[0:1], v[14:15], v[80:81]
	v_mul_f64 v[2:3], v[12:13], v[80:81]
	v_fmac_f64_e32 v[0:1], v[12:13], v[78:79]
	v_fma_f64 v[2:3], v[14:15], v[78:79], -v[2:3]
	ds_write_b128 v100, v[0:3] offset:19200
	;; [unrolled: 6-line block ×4, first 2 shown]
	v_accvgpr_write_b32 a10, v82
	s_waitcnt vmcnt(16)
	v_mul_f64 v[0:1], v[36:37], v[96:97]
	v_mul_f64 v[2:3], v[34:35], v[96:97]
	v_fmac_f64_e32 v[0:1], v[34:35], v[94:95]
	v_fma_f64 v[2:3], v[36:37], v[94:95], -v[2:3]
	ds_write_b128 v100, v[0:3] offset:8400
	s_waitcnt vmcnt(14)
	v_mul_f64 v[0:1], v[40:41], v[110:111]
	v_mul_f64 v[2:3], v[38:39], v[110:111]
	v_fmac_f64_e32 v[0:1], v[38:39], v[108:109]
	v_fma_f64 v[2:3], v[40:41], v[108:109], -v[2:3]
	ds_write_b128 v100, v[0:3] offset:14800
	;; [unrolled: 6-line block ×7, first 2 shown]
	s_waitcnt vmcnt(2)
	v_mul_f64 v[0:1], v[64:65], v[134:135]
	v_mul_f64 v[2:3], v[62:63], v[134:135]
	v_fmac_f64_e32 v[0:1], v[62:63], v[132:133]
	v_fma_f64 v[2:3], v[64:65], v[132:133], -v[2:3]
	v_accvgpr_write_b32 a4, v78
	v_accvgpr_write_b32 a18, v90
	;; [unrolled: 1-line block ×10, first 2 shown]
	ds_write_b128 v100, v[0:3] offset:23200
	s_waitcnt vmcnt(0)
	v_mul_f64 v[0:1], v[68:69], v[138:139]
	v_mul_f64 v[2:3], v[66:67], v[138:139]
	v_accvgpr_write_b32 a60, v136
	v_accvgpr_write_b32 a3, v77
	;; [unrolled: 1-line block ×38, first 2 shown]
	v_fmac_f64_e32 v[0:1], v[66:67], v[136:137]
	v_accvgpr_write_b32 a61, v137
	v_accvgpr_write_b32 a62, v138
	;; [unrolled: 1-line block ×3, first 2 shown]
	v_fma_f64 v[2:3], v[68:69], v[136:137], -v[2:3]
	ds_write_b128 v100, v[4:7] offset:6400
	ds_write_b128 v100, v[0:3] offset:29600
	s_and_saveexec_b64 s[16:17], s[2:3]
	s_cbranch_execz .LBB0_3
; %bb.2:
	v_lshl_add_u64 v[8:9], s[14:15], 4, v[32:33]
	v_add_co_u32_e32 v4, vcc, 0x1000, v102
	v_lshl_add_u64 v[16:17], v[8:9], 0, s[10:11]
	s_nop 0
	v_addc_co_u32_e32 v5, vcc, 0, v103, vcc
	global_load_dwordx4 v[0:3], v[8:9], off
	s_nop 0
	global_load_dwordx4 v[4:7], v[4:5], off offset:1904
	s_nop 0
	global_load_dwordx4 v[8:11], v[16:17], off
	global_load_dwordx4 v[12:15], v[26:27], off offset:112
	v_lshl_add_u64 v[26:27], v[16:17], 0, s[10:11]
	global_load_dwordx4 v[16:19], v[28:29], off offset:2416
	global_load_dwordx4 v[20:23], v[26:27], off
	v_lshl_add_u64 v[40:41], v[26:27], 0, s[10:11]
	global_load_dwordx4 v[26:29], v[40:41], off
	global_load_dwordx4 v[32:35], v[24:25], off offset:624
	global_load_dwordx4 v[36:39], v[30:31], off offset:2928
	v_lshl_add_u64 v[24:25], v[40:41], 0, s[10:11]
	global_load_dwordx4 v[40:43], v[24:25], off
	s_waitcnt vmcnt(8)
	v_mul_f64 v[44:45], v[2:3], v[6:7]
	v_mul_f64 v[24:25], v[0:1], v[6:7]
	s_waitcnt vmcnt(6)
	v_mul_f64 v[6:7], v[10:11], v[14:15]
	v_fmac_f64_e32 v[44:45], v[0:1], v[4:5]
	v_fma_f64 v[46:47], v[2:3], v[4:5], -v[24:25]
	s_waitcnt vmcnt(4)
	v_mul_f64 v[0:1], v[22:23], v[18:19]
	v_mul_f64 v[2:3], v[20:21], v[18:19]
	;; [unrolled: 1-line block ×3, first 2 shown]
	v_fmac_f64_e32 v[6:7], v[8:9], v[12:13]
	v_fmac_f64_e32 v[0:1], v[20:21], v[16:17]
	v_fma_f64 v[2:3], v[22:23], v[16:17], -v[2:3]
	v_fma_f64 v[8:9], v[10:11], v[12:13], -v[14:15]
	ds_write_b128 v100, v[44:47] offset:6000
	ds_write_b128 v100, v[6:9] offset:12400
	s_waitcnt vmcnt(2)
	v_mul_f64 v[4:5], v[28:29], v[34:35]
	v_mul_f64 v[6:7], v[26:27], v[34:35]
	ds_write_b128 v100, v[0:3] offset:18800
	s_waitcnt vmcnt(0)
	v_mul_f64 v[0:1], v[42:43], v[38:39]
	v_mul_f64 v[2:3], v[40:41], v[38:39]
	v_fmac_f64_e32 v[4:5], v[26:27], v[32:33]
	v_fma_f64 v[6:7], v[28:29], v[32:33], -v[6:7]
	v_fmac_f64_e32 v[0:1], v[40:41], v[36:37]
	v_fma_f64 v[2:3], v[42:43], v[36:37], -v[2:3]
	ds_write_b128 v100, v[4:7] offset:25200
	ds_write_b128 v100, v[0:3] offset:31600
.LBB0_3:
	s_or_b64 exec, exec, s[16:17]
	s_waitcnt lgkmcnt(0)
	s_barrier
	ds_read_b128 v[64:67], v100
	ds_read_b128 v[60:63], v100 offset:2000
	ds_read_b128 v[56:59], v100 offset:12800
	;; [unrolled: 1-line block ×14, first 2 shown]
                                        ; implicit-def: $vgpr4_vgpr5
                                        ; implicit-def: $vgpr22_vgpr23
                                        ; implicit-def: $vgpr68_vgpr69
                                        ; implicit-def: $vgpr72_vgpr73
                                        ; implicit-def: $vgpr76_vgpr77
	s_and_saveexec_b64 s[10:11], s[2:3]
	s_cbranch_execz .LBB0_5
; %bb.4:
	ds_read_b128 v[4:7], v100 offset:6000
	ds_read_b128 v[22:25], v100 offset:12400
	;; [unrolled: 1-line block ×5, first 2 shown]
.LBB0_5:
	s_or_b64 exec, exec, s[10:11]
	s_waitcnt lgkmcnt(8)
	v_add_f64 v[20:21], v[64:65], v[88:89]
	s_mov_b64 s[10:11], 0x7d
	v_add_f64 v[20:21], v[20:21], v[56:57]
	v_lshl_add_u64 v[164:165], v[224:225], 0, s[10:11]
	s_mov_b64 s[10:11], 0xfa
	s_waitcnt lgkmcnt(4)
	v_add_f64 v[20:21], v[20:21], v[92:93]
	v_lshl_add_u64 v[172:173], v[224:225], 0, s[10:11]
	s_mov_b64 s[10:11], 0x177
	v_add_f64 v[46:47], v[20:21], v[84:85]
	v_add_f64 v[20:21], v[56:57], v[92:93]
	s_mov_b32 s14, 0x134454ff
	v_lshl_add_u64 v[204:205], v[224:225], 0, s[10:11]
	v_fma_f64 v[42:43], -0.5, v[20:21], v[64:65]
	v_add_f64 v[20:21], v[90:91], -v[86:87]
	s_mov_b32 s15, 0x3fee6f0e
	s_mov_b32 s10, 0x4755a5e
	;; [unrolled: 1-line block ×4, first 2 shown]
	v_fma_f64 v[50:51], s[14:15], v[20:21], v[42:43]
	v_add_f64 v[44:45], v[58:59], -v[94:95]
	s_mov_b32 s11, 0x3fe2cf23
	v_add_f64 v[48:49], v[88:89], -v[56:57]
	v_add_f64 v[52:53], v[84:85], -v[92:93]
	s_mov_b32 s16, 0x372fe950
	v_fmac_f64_e32 v[42:43], s[18:19], v[20:21]
	s_mov_b32 s21, 0xbfe2cf23
	s_mov_b32 s20, s10
	v_fmac_f64_e32 v[50:51], s[10:11], v[44:45]
	v_add_f64 v[48:49], v[48:49], v[52:53]
	s_mov_b32 s17, 0x3fd3c6ef
	v_fmac_f64_e32 v[42:43], s[20:21], v[44:45]
	v_fmac_f64_e32 v[50:51], s[16:17], v[48:49]
	;; [unrolled: 1-line block ×3, first 2 shown]
	v_add_f64 v[48:49], v[88:89], v[84:85]
	v_fmac_f64_e32 v[64:65], -0.5, v[48:49]
	v_fma_f64 v[54:55], s[18:19], v[44:45], v[64:65]
	v_fmac_f64_e32 v[64:65], s[14:15], v[44:45]
	v_fmac_f64_e32 v[54:55], s[10:11], v[20:21]
	;; [unrolled: 1-line block ×3, first 2 shown]
	v_add_f64 v[20:21], v[66:67], v[90:91]
	v_add_f64 v[48:49], v[56:57], -v[88:89]
	v_add_f64 v[52:53], v[92:93], -v[84:85]
	v_add_f64 v[20:21], v[20:21], v[58:59]
	v_add_f64 v[48:49], v[48:49], v[52:53]
	;; [unrolled: 1-line block ×3, first 2 shown]
	v_fmac_f64_e32 v[54:55], s[16:17], v[48:49]
	v_fmac_f64_e32 v[64:65], s[16:17], v[48:49]
	v_add_f64 v[48:49], v[20:21], v[86:87]
	v_add_f64 v[20:21], v[58:59], v[94:95]
	v_fma_f64 v[44:45], -0.5, v[20:21], v[66:67]
	v_add_f64 v[20:21], v[88:89], -v[84:85]
	v_fma_f64 v[52:53], s[18:19], v[20:21], v[44:45]
	v_add_f64 v[84:85], v[56:57], -v[92:93]
	v_add_f64 v[56:57], v[90:91], -v[58:59]
	;; [unrolled: 1-line block ×3, first 2 shown]
	v_fmac_f64_e32 v[44:45], s[14:15], v[20:21]
	v_fmac_f64_e32 v[52:53], s[20:21], v[84:85]
	v_add_f64 v[56:57], v[56:57], v[88:89]
	v_fmac_f64_e32 v[44:45], s[10:11], v[84:85]
	v_fmac_f64_e32 v[52:53], s[16:17], v[56:57]
	;; [unrolled: 1-line block ×3, first 2 shown]
	v_add_f64 v[56:57], v[90:91], v[86:87]
	v_fmac_f64_e32 v[66:67], -0.5, v[56:57]
	v_fma_f64 v[56:57], s[14:15], v[84:85], v[66:67]
	v_fmac_f64_e32 v[66:67], s[18:19], v[84:85]
	v_fmac_f64_e32 v[56:57], s[20:21], v[20:21]
	v_fmac_f64_e32 v[66:67], s[10:11], v[20:21]
	v_add_f64 v[20:21], v[60:61], v[34:35]
	v_add_f64 v[20:21], v[20:21], v[26:27]
	s_waitcnt lgkmcnt(2)
	v_add_f64 v[20:21], v[20:21], v[38:39]
	v_add_f64 v[58:59], v[58:59], -v[90:91]
	v_add_f64 v[86:87], v[94:95], -v[86:87]
	v_add_f64 v[88:89], v[20:21], v[30:31]
	v_add_f64 v[20:21], v[26:27], v[38:39]
	v_add_f64 v[58:59], v[58:59], v[86:87]
	v_fma_f64 v[84:85], -0.5, v[20:21], v[60:61]
	v_add_f64 v[20:21], v[36:37], -v[32:33]
	v_fmac_f64_e32 v[56:57], s[16:17], v[58:59]
	v_fmac_f64_e32 v[66:67], s[16:17], v[58:59]
	v_fma_f64 v[92:93], s[14:15], v[20:21], v[84:85]
	v_add_f64 v[58:59], v[28:29], -v[40:41]
	v_add_f64 v[86:87], v[34:35], -v[26:27]
	;; [unrolled: 1-line block ×3, first 2 shown]
	v_fmac_f64_e32 v[84:85], s[18:19], v[20:21]
	v_fmac_f64_e32 v[92:93], s[10:11], v[58:59]
	v_add_f64 v[86:87], v[86:87], v[90:91]
	v_fmac_f64_e32 v[84:85], s[20:21], v[58:59]
	v_fmac_f64_e32 v[92:93], s[16:17], v[86:87]
	v_fmac_f64_e32 v[84:85], s[16:17], v[86:87]
	v_add_f64 v[86:87], v[34:35], v[30:31]
	v_fmac_f64_e32 v[60:61], -0.5, v[86:87]
	v_fma_f64 v[96:97], s[18:19], v[58:59], v[60:61]
	v_fmac_f64_e32 v[60:61], s[14:15], v[58:59]
	v_fmac_f64_e32 v[96:97], s[10:11], v[20:21]
	;; [unrolled: 1-line block ×3, first 2 shown]
	v_add_f64 v[20:21], v[62:63], v[36:37]
	v_add_f64 v[20:21], v[20:21], v[28:29]
	v_add_f64 v[86:87], v[26:27], -v[34:35]
	v_add_f64 v[90:91], v[38:39], -v[30:31]
	v_add_f64 v[20:21], v[20:21], v[40:41]
	v_add_f64 v[86:87], v[86:87], v[90:91]
	;; [unrolled: 1-line block ×4, first 2 shown]
	v_fmac_f64_e32 v[96:97], s[16:17], v[86:87]
	v_fmac_f64_e32 v[60:61], s[16:17], v[86:87]
	v_fma_f64 v[86:87], -0.5, v[20:21], v[62:63]
	v_add_f64 v[20:21], v[34:35], -v[30:31]
	v_fma_f64 v[94:95], s[18:19], v[20:21], v[86:87]
	v_add_f64 v[26:27], v[26:27], -v[38:39]
	v_add_f64 v[30:31], v[36:37], -v[28:29]
	;; [unrolled: 1-line block ×3, first 2 shown]
	v_fmac_f64_e32 v[86:87], s[14:15], v[20:21]
	v_fmac_f64_e32 v[94:95], s[20:21], v[26:27]
	v_add_f64 v[30:31], v[30:31], v[34:35]
	v_fmac_f64_e32 v[86:87], s[10:11], v[26:27]
	v_fmac_f64_e32 v[94:95], s[16:17], v[30:31]
	;; [unrolled: 1-line block ×3, first 2 shown]
	v_add_f64 v[30:31], v[36:37], v[32:33]
	v_fmac_f64_e32 v[62:63], -0.5, v[30:31]
	v_fma_f64 v[98:99], s[14:15], v[26:27], v[62:63]
	v_fmac_f64_e32 v[62:63], s[18:19], v[26:27]
	v_fmac_f64_e32 v[98:99], s[20:21], v[20:21]
	;; [unrolled: 1-line block ×3, first 2 shown]
	v_add_f64 v[20:21], v[12:13], v[0:1]
	v_add_f64 v[20:21], v[20:21], v[8:9]
	s_waitcnt lgkmcnt(1)
	v_add_f64 v[20:21], v[20:21], v[16:17]
	v_add_f64 v[28:29], v[28:29], -v[36:37]
	v_add_f64 v[30:31], v[40:41], -v[32:33]
	s_waitcnt lgkmcnt(0)
	v_add_f64 v[26:27], v[20:21], v[80:81]
	v_add_f64 v[20:21], v[8:9], v[16:17]
	;; [unrolled: 1-line block ×3, first 2 shown]
	v_fma_f64 v[30:31], -0.5, v[20:21], v[12:13]
	v_add_f64 v[20:21], v[2:3], -v[82:83]
	v_fmac_f64_e32 v[98:99], s[16:17], v[28:29]
	v_fmac_f64_e32 v[62:63], s[16:17], v[28:29]
	v_fma_f64 v[34:35], s[14:15], v[20:21], v[30:31]
	v_add_f64 v[28:29], v[10:11], -v[18:19]
	v_add_f64 v[32:33], v[0:1], -v[8:9]
	;; [unrolled: 1-line block ×3, first 2 shown]
	v_fmac_f64_e32 v[30:31], s[18:19], v[20:21]
	v_fmac_f64_e32 v[34:35], s[10:11], v[28:29]
	v_add_f64 v[32:33], v[32:33], v[36:37]
	v_fmac_f64_e32 v[30:31], s[20:21], v[28:29]
	v_fmac_f64_e32 v[34:35], s[16:17], v[32:33]
	;; [unrolled: 1-line block ×3, first 2 shown]
	v_add_f64 v[32:33], v[0:1], v[80:81]
	v_fmac_f64_e32 v[12:13], -0.5, v[32:33]
	v_fma_f64 v[38:39], s[18:19], v[28:29], v[12:13]
	v_fmac_f64_e32 v[12:13], s[14:15], v[28:29]
	v_fmac_f64_e32 v[38:39], s[10:11], v[20:21]
	;; [unrolled: 1-line block ×3, first 2 shown]
	v_add_f64 v[20:21], v[14:15], v[2:3]
	v_add_f64 v[20:21], v[20:21], v[10:11]
	v_add_f64 v[32:33], v[8:9], -v[0:1]
	v_add_f64 v[36:37], v[16:17], -v[80:81]
	v_add_f64 v[20:21], v[20:21], v[18:19]
	v_add_f64 v[32:33], v[32:33], v[36:37]
	v_add_f64 v[28:29], v[20:21], v[82:83]
	v_add_f64 v[20:21], v[10:11], v[18:19]
	v_fmac_f64_e32 v[38:39], s[16:17], v[32:33]
	v_fmac_f64_e32 v[12:13], s[16:17], v[32:33]
	v_fma_f64 v[32:33], -0.5, v[20:21], v[14:15]
	v_add_f64 v[0:1], v[0:1], -v[80:81]
	v_fma_f64 v[36:37], s[18:19], v[0:1], v[32:33]
	v_add_f64 v[8:9], v[8:9], -v[16:17]
	v_add_f64 v[16:17], v[2:3], -v[10:11]
	;; [unrolled: 1-line block ×3, first 2 shown]
	v_fmac_f64_e32 v[32:33], s[14:15], v[0:1]
	v_fmac_f64_e32 v[36:37], s[20:21], v[8:9]
	v_add_f64 v[16:17], v[16:17], v[20:21]
	v_fmac_f64_e32 v[32:33], s[10:11], v[8:9]
	v_fmac_f64_e32 v[36:37], s[16:17], v[16:17]
	v_fmac_f64_e32 v[32:33], s[16:17], v[16:17]
	v_add_f64 v[16:17], v[2:3], v[82:83]
	v_fmac_f64_e32 v[14:15], -0.5, v[16:17]
	v_fma_f64 v[40:41], s[14:15], v[8:9], v[14:15]
	v_add_f64 v[2:3], v[10:11], -v[2:3]
	v_add_f64 v[10:11], v[18:19], -v[82:83]
	v_fmac_f64_e32 v[14:15], s[18:19], v[8:9]
	v_fmac_f64_e32 v[40:41], s[20:21], v[0:1]
	v_add_f64 v[2:3], v[2:3], v[10:11]
	v_fmac_f64_e32 v[14:15], s[10:11], v[0:1]
	v_fmac_f64_e32 v[40:41], s[16:17], v[2:3]
	;; [unrolled: 1-line block ×3, first 2 shown]
	v_add_f64 v[2:3], v[68:69], v[72:73]
	v_fma_f64 v[16:17], -0.5, v[2:3], v[4:5]
	v_add_f64 v[2:3], v[24:25], -v[78:79]
	v_fma_f64 v[8:9], s[14:15], v[2:3], v[16:17]
	v_add_f64 v[10:11], v[70:71], -v[74:75]
	v_add_f64 v[18:19], v[22:23], -v[68:69]
	;; [unrolled: 1-line block ×3, first 2 shown]
	v_fmac_f64_e32 v[16:17], s[18:19], v[2:3]
	v_fmac_f64_e32 v[8:9], s[10:11], v[10:11]
	v_add_f64 v[18:19], v[18:19], v[20:21]
	v_fmac_f64_e32 v[16:17], s[20:21], v[10:11]
	v_fmac_f64_e32 v[8:9], s[16:17], v[18:19]
	;; [unrolled: 1-line block ×3, first 2 shown]
	v_add_f64 v[18:19], v[22:23], v[76:77]
	v_add_f64 v[0:1], v[4:5], v[22:23]
	v_fmac_f64_e32 v[4:5], -0.5, v[18:19]
	v_fma_f64 v[20:21], s[18:19], v[10:11], v[4:5]
	v_add_f64 v[18:19], v[68:69], -v[22:23]
	v_add_f64 v[58:59], v[72:73], -v[76:77]
	v_fmac_f64_e32 v[4:5], s[14:15], v[10:11]
	v_fmac_f64_e32 v[20:21], s[10:11], v[2:3]
	v_add_f64 v[18:19], v[18:19], v[58:59]
	v_fmac_f64_e32 v[4:5], s[20:21], v[2:3]
	v_add_f64 v[10:11], v[70:71], v[74:75]
	v_add_f64 v[0:1], v[0:1], v[68:69]
	v_fmac_f64_e32 v[20:21], s[16:17], v[18:19]
	v_fmac_f64_e32 v[4:5], s[16:17], v[18:19]
	v_fma_f64 v[18:19], -0.5, v[10:11], v[6:7]
	v_add_f64 v[58:59], v[22:23], -v[76:77]
	v_add_f64 v[0:1], v[0:1], v[72:73]
	v_fma_f64 v[10:11], s[18:19], v[58:59], v[18:19]
	v_add_f64 v[68:69], v[68:69], -v[72:73]
	v_add_f64 v[22:23], v[24:25], -v[70:71]
	v_add_f64 v[72:73], v[78:79], -v[74:75]
	v_fmac_f64_e32 v[18:19], s[14:15], v[58:59]
	v_fmac_f64_e32 v[10:11], s[20:21], v[68:69]
	v_add_f64 v[22:23], v[22:23], v[72:73]
	v_fmac_f64_e32 v[18:19], s[10:11], v[68:69]
	v_fmac_f64_e32 v[10:11], s[16:17], v[22:23]
	;; [unrolled: 1-line block ×3, first 2 shown]
	v_add_f64 v[22:23], v[24:25], v[78:79]
	v_add_f64 v[2:3], v[6:7], v[24:25]
	v_fmac_f64_e32 v[6:7], -0.5, v[22:23]
	v_add_f64 v[2:3], v[2:3], v[70:71]
	v_fma_f64 v[22:23], s[14:15], v[68:69], v[6:7]
	v_add_f64 v[24:25], v[70:71], -v[24:25]
	v_add_f64 v[70:71], v[74:75], -v[78:79]
	v_fmac_f64_e32 v[6:7], s[18:19], v[68:69]
	v_fmac_f64_e32 v[22:23], s[20:21], v[58:59]
	v_add_f64 v[24:25], v[24:25], v[70:71]
	v_fmac_f64_e32 v[6:7], s[10:11], v[58:59]
	v_fmac_f64_e32 v[22:23], s[16:17], v[24:25]
	;; [unrolled: 1-line block ×3, first 2 shown]
	v_mul_lo_u16_e32 v24, 5, v224
	v_lshlrev_b32_e32 v24, 4, v24
	s_barrier
	ds_write_b128 v24, v[46:49]
	ds_write_b128 v24, v[50:53] offset:16
	ds_write_b128 v24, v[54:57] offset:32
	;; [unrolled: 1-line block ×3, first 2 shown]
	v_accvgpr_write_b32 a9, v24
	ds_write_b128 v24, v[42:45] offset:64
	v_mul_u32_u24_e32 v24, 5, v164
	s_load_dwordx2 s[0:1], s[0:1], 0x8
	v_lshlrev_b32_e32 v24, 4, v24
	ds_write_b128 v24, v[88:91]
	ds_write_b128 v24, v[92:95] offset:16
	ds_write_b128 v24, v[96:99] offset:32
	ds_write_b128 v24, v[60:63] offset:48
	v_accvgpr_write_b32 a59, v24
	ds_write_b128 v24, v[84:87] offset:64
	v_mul_u32_u24_e32 v24, 5, v172
	v_lshlrev_b32_e32 v24, 4, v24
	v_add_f64 v[2:3], v[2:3], v[74:75]
	ds_write_b128 v24, v[26:29]
	ds_write_b128 v24, v[34:37] offset:16
	ds_write_b128 v24, v[38:41] offset:32
	;; [unrolled: 1-line block ×3, first 2 shown]
	v_mul_u32_u24_e32 v12, 5, v204
	v_add_f64 v[0:1], v[0:1], v[76:77]
	v_add_f64 v[2:3], v[2:3], v[78:79]
	v_accvgpr_write_b32 a64, v24
	v_accvgpr_write_b32 a65, v12
	ds_write_b128 v24, v[30:33] offset:64
	s_and_saveexec_b64 s[10:11], s[2:3]
	s_cbranch_execz .LBB0_7
; %bb.6:
	v_accvgpr_read_b32 v12, a65
	v_lshlrev_b32_e32 v12, 4, v12
	ds_write_b128 v12, v[0:3]
	ds_write_b128 v12, v[8:11] offset:16
	ds_write_b128 v12, v[20:23] offset:32
	;; [unrolled: 1-line block ×4, first 2 shown]
.LBB0_7:
	s_or_b64 exec, exec, s[10:11]
	s_waitcnt lgkmcnt(0)
	s_barrier
	ds_read_b128 v[128:131], v100
	ds_read_b128 v[124:127], v100 offset:2000
	ds_read_b128 v[152:155], v100 offset:12800
	;; [unrolled: 1-line block ×14, first 2 shown]
	s_and_saveexec_b64 s[10:11], s[2:3]
	s_cbranch_execz .LBB0_9
; %bb.8:
	ds_read_b128 v[0:3], v100 offset:6000
	ds_read_b128 v[8:11], v100 offset:12400
	;; [unrolled: 1-line block ×5, first 2 shown]
.LBB0_9:
	s_or_b64 exec, exec, s[10:11]
	s_movk_i32 s10, 0xcd
	v_mul_lo_u16_sdwa v40, v224, s10 dst_sel:DWORD dst_unused:UNUSED_PAD src0_sel:BYTE_0 src1_sel:DWORD
	v_lshrrev_b16_e32 v101, 10, v40
	v_mul_lo_u16_e32 v40, 5, v101
	v_sub_u16_e32 v40, v224, v40
	v_and_b32_e32 v165, 0xff, v40
	v_lshlrev_b32_e32 v40, 6, v165
	global_load_dwordx4 v[60:63], v40, s[0:1]
	global_load_dwordx4 v[56:59], v40, s[0:1] offset:16
	global_load_dwordx4 v[52:55], v40, s[0:1] offset:32
	;; [unrolled: 1-line block ×3, first 2 shown]
	v_mul_lo_u16_sdwa v40, v164, s10 dst_sel:DWORD dst_unused:UNUSED_PAD src0_sel:BYTE_0 src1_sel:DWORD
	v_lshrrev_b16_e32 v166, 10, v40
	v_mul_lo_u16_e32 v40, 5, v166
	v_sub_u16_e32 v40, v164, v40
	v_and_b32_e32 v167, 0xff, v40
	v_lshlrev_b32_e32 v40, 6, v167
	s_mov_b32 s10, 0xcccd
	global_load_dwordx4 v[88:91], v40, s[0:1]
	global_load_dwordx4 v[84:87], v40, s[0:1] offset:16
	global_load_dwordx4 v[64:67], v40, s[0:1] offset:48
	;; [unrolled: 1-line block ×3, first 2 shown]
	v_mul_u32_u24_sdwa v40, v172, s10 dst_sel:DWORD dst_unused:UNUSED_PAD src0_sel:WORD_0 src1_sel:DWORD
	v_lshrrev_b32_e32 v168, 18, v40
	v_mul_lo_u16_e32 v40, 5, v168
	v_sub_u16_e32 v169, v172, v40
	v_lshlrev_b16_e32 v40, 2, v169
	v_lshlrev_b32_e32 v40, 4, v40
	global_load_dwordx4 v[104:107], v40, s[0:1]
	global_load_dwordx4 v[72:75], v40, s[0:1] offset:16
	global_load_dwordx4 v[96:99], v40, s[0:1] offset:32
	;; [unrolled: 1-line block ×3, first 2 shown]
	v_mul_u32_u24_sdwa v40, v204, s10 dst_sel:DWORD dst_unused:UNUSED_PAD src0_sel:WORD_0 src1_sel:DWORD
	v_lshrrev_b32_e32 v170, 18, v40
	v_mul_lo_u16_e32 v40, 5, v170
	v_sub_u16_e32 v171, v204, v40
	v_lshlrev_b16_e32 v40, 2, v171
	v_lshlrev_b32_e32 v40, 4, v40
	global_load_dwordx4 v[120:123], v40, s[0:1]
	global_load_dwordx4 v[116:119], v40, s[0:1] offset:16
	global_load_dwordx4 v[112:115], v40, s[0:1] offset:32
	;; [unrolled: 1-line block ×3, first 2 shown]
	s_mov_b32 s16, 0x134454ff
	s_mov_b32 s17, 0x3fee6f0e
	;; [unrolled: 1-line block ×8, first 2 shown]
	s_waitcnt lgkmcnt(0)
	s_barrier
	s_waitcnt vmcnt(15)
	v_mul_f64 v[40:41], v[162:163], v[62:63]
	s_waitcnt vmcnt(14)
	v_mul_f64 v[42:43], v[154:155], v[58:59]
	v_mul_f64 v[46:47], v[152:153], v[58:59]
	v_fma_f64 v[152:153], v[152:153], v[56:57], -v[42:43]
	v_fmac_f64_e32 v[46:47], v[154:155], v[56:57]
	s_waitcnt vmcnt(13)
	v_mul_f64 v[42:43], v[158:159], v[54:55]
	v_mul_f64 v[154:155], v[156:157], v[54:55]
	v_accvgpr_write_b32 a73, v55
	v_fma_f64 v[156:157], v[156:157], v[52:53], -v[42:43]
	v_accvgpr_write_b32 a72, v54
	v_accvgpr_write_b32 a71, v53
	v_accvgpr_write_b32 a70, v52
	v_fmac_f64_e32 v[154:155], v[158:159], v[52:53]
	s_waitcnt vmcnt(12)
	v_mul_f64 v[42:43], v[150:151], v[50:51]
	v_mul_f64 v[158:159], v[148:149], v[50:51]
	v_accvgpr_write_b32 a69, v51
	s_waitcnt vmcnt(9)
	v_mul_f64 v[54:55], v[134:135], v[66:67]
	v_mul_f64 v[44:45], v[160:161], v[62:63]
	v_fma_f64 v[40:41], v[160:161], v[60:61], -v[40:41]
	v_fma_f64 v[160:161], v[148:149], v[48:49], -v[42:43]
	v_accvgpr_write_b32 a68, v50
	v_accvgpr_write_b32 a67, v49
	;; [unrolled: 1-line block ×3, first 2 shown]
	v_fmac_f64_e32 v[158:159], v[150:151], v[48:49]
	v_mul_f64 v[48:49], v[146:147], v[90:91]
	v_fma_f64 v[150:151], v[132:133], v[64:65], -v[54:55]
	s_waitcnt vmcnt(7)
	v_mul_f64 v[54:55], v[38:39], v[106:107]
	v_mul_f64 v[42:43], v[144:145], v[90:91]
	v_fma_f64 v[144:145], v[144:145], v[88:89], -v[48:49]
	v_mul_f64 v[48:49], v[136:137], v[86:87]
	v_mul_f64 v[52:53], v[142:143], v[82:83]
	;; [unrolled: 1-line block ×3, first 2 shown]
	v_fma_f64 v[54:55], v[36:37], v[104:105], -v[54:55]
	s_waitcnt vmcnt(6)
	v_mul_f64 v[36:37], v[34:35], v[74:75]
	v_mul_f64 v[50:51], v[138:139], v[86:87]
	v_fmac_f64_e32 v[48:49], v[138:139], v[84:85]
	v_fma_f64 v[148:149], v[140:141], v[80:81], -v[52:53]
	v_mul_f64 v[52:53], v[132:133], v[66:67]
	v_mul_f64 v[132:133], v[32:33], v[74:75]
	v_fma_f64 v[138:139], v[32:33], v[72:73], -v[36:37]
	s_waitcnt vmcnt(5)
	v_mul_f64 v[32:33], v[30:31], v[98:99]
	v_fmac_f64_e32 v[42:43], v[146:147], v[88:89]
	v_fma_f64 v[146:147], v[136:137], v[84:85], -v[50:51]
	v_mul_f64 v[50:51], v[140:141], v[82:83]
	v_fmac_f64_e32 v[52:53], v[134:135], v[64:65]
	v_mul_f64 v[134:135], v[28:29], v[98:99]
	v_fma_f64 v[140:141], v[28:29], v[96:97], -v[32:33]
	s_waitcnt vmcnt(4)
	v_mul_f64 v[28:29], v[26:27], v[94:95]
	v_accvgpr_write_b32 a77, v59
	v_fmac_f64_e32 v[50:51], v[142:143], v[80:81]
	v_accvgpr_write_b32 a85, v67
	v_mul_f64 v[136:137], v[24:25], v[94:95]
	v_fma_f64 v[142:143], v[24:25], v[92:93], -v[28:29]
	s_waitcnt vmcnt(3)
	v_mul_f64 v[24:25], v[10:11], v[122:123]
	v_accvgpr_write_b32 a76, v58
	v_accvgpr_write_b32 a75, v57
	v_accvgpr_write_b32 a74, v56
	v_accvgpr_write_b32 a84, v66
	v_accvgpr_write_b32 a83, v65
	v_accvgpr_write_b32 a82, v64
	v_fma_f64 v[64:65], v[8:9], v[120:121], -v[24:25]
	v_mul_f64 v[56:57], v[8:9], v[122:123]
	s_waitcnt vmcnt(2)
	v_mul_f64 v[8:9], v[22:23], v[118:119]
	v_accvgpr_write_b32 a81, v63
	v_fma_f64 v[66:67], v[20:21], v[116:117], -v[8:9]
	s_waitcnt vmcnt(1)
	v_mul_f64 v[8:9], v[6:7], v[114:115]
	v_accvgpr_write_b32 a80, v62
	v_accvgpr_write_b32 a79, v61
	;; [unrolled: 1-line block ×3, first 2 shown]
	v_fmac_f64_e32 v[44:45], v[162:163], v[60:61]
	v_fma_f64 v[68:69], v[4:5], v[112:113], -v[8:9]
	v_mul_f64 v[60:61], v[4:5], v[114:115]
	s_waitcnt vmcnt(0)
	v_mul_f64 v[4:5], v[18:19], v[110:111]
	v_fmac_f64_e32 v[60:61], v[6:7], v[112:113]
	v_fma_f64 v[6:7], v[16:17], v[108:109], -v[4:5]
	v_add_f64 v[4:5], v[40:41], -v[152:153]
	v_add_f64 v[8:9], v[160:161], -v[156:157]
	v_add_f64 v[4:5], v[4:5], v[8:9]
	v_add_f64 v[8:9], v[152:153], v[156:157]
	v_mul_f64 v[62:63], v[16:17], v[110:111]
	v_fma_f64 v[16:17], -0.5, v[8:9], v[128:129]
	v_add_f64 v[8:9], v[44:45], -v[158:159]
	v_fmac_f64_e32 v[56:57], v[10:11], v[120:121]
	v_mul_f64 v[58:59], v[20:21], v[118:119]
	v_add_f64 v[10:11], v[46:47], -v[154:155]
	v_fma_f64 v[20:21], s[16:17], v[8:9], v[16:17]
	v_fmac_f64_e32 v[16:17], s[18:19], v[8:9]
	v_fmac_f64_e32 v[62:63], v[18:19], v[108:109]
	;; [unrolled: 1-line block ×4, first 2 shown]
	v_add_f64 v[18:19], v[40:41], v[160:161]
	v_fmac_f64_e32 v[20:21], s[14:15], v[4:5]
	v_fmac_f64_e32 v[16:17], s[14:15], v[4:5]
	v_add_f64 v[4:5], v[128:129], v[40:41]
	v_fmac_f64_e32 v[128:129], -0.5, v[18:19]
	v_fma_f64 v[24:25], s[18:19], v[10:11], v[128:129]
	v_fmac_f64_e32 v[128:129], s[16:17], v[10:11]
	v_add_f64 v[4:5], v[4:5], v[152:153]
	v_fmac_f64_e32 v[58:59], v[22:23], v[116:117]
	v_add_f64 v[18:19], v[152:153], -v[40:41]
	v_add_f64 v[22:23], v[156:157], -v[160:161]
	v_fmac_f64_e32 v[24:25], s[10:11], v[8:9]
	v_fmac_f64_e32 v[128:129], s[20:21], v[8:9]
	v_add_f64 v[4:5], v[4:5], v[156:157]
	v_add_f64 v[8:9], v[130:131], v[44:45]
	v_add_f64 v[18:19], v[18:19], v[22:23]
	v_add_f64 v[8:9], v[8:9], v[46:47]
	v_add_f64 v[28:29], v[4:5], v[160:161]
	v_add_f64 v[4:5], v[46:47], v[154:155]
	v_fmac_f64_e32 v[24:25], s[14:15], v[18:19]
	v_fmac_f64_e32 v[128:129], s[14:15], v[18:19]
	v_add_f64 v[8:9], v[8:9], v[154:155]
	v_fma_f64 v[18:19], -0.5, v[4:5], v[130:131]
	v_add_f64 v[4:5], v[40:41], -v[160:161]
	v_add_f64 v[10:11], v[44:45], -v[46:47]
	;; [unrolled: 1-line block ×3, first 2 shown]
	v_fmac_f64_e32 v[134:135], v[30:31], v[96:97]
	v_add_f64 v[30:31], v[8:9], v[158:159]
	v_add_f64 v[8:9], v[152:153], -v[156:157]
	v_add_f64 v[10:11], v[10:11], v[22:23]
	v_fma_f64 v[22:23], s[18:19], v[4:5], v[18:19]
	v_fmac_f64_e32 v[18:19], s[16:17], v[4:5]
	v_fmac_f64_e32 v[22:23], s[20:21], v[8:9]
	v_fmac_f64_e32 v[18:19], s[10:11], v[8:9]
	v_fmac_f64_e32 v[22:23], s[14:15], v[10:11]
	v_fmac_f64_e32 v[18:19], s[14:15], v[10:11]
	v_add_f64 v[10:11], v[44:45], v[158:159]
	v_fmac_f64_e32 v[136:137], v[26:27], v[92:93]
	v_fmac_f64_e32 v[130:131], -0.5, v[10:11]
	v_add_f64 v[10:11], v[46:47], -v[44:45]
	v_add_f64 v[26:27], v[154:155], -v[158:159]
	v_add_f64 v[10:11], v[10:11], v[26:27]
	v_fma_f64 v[26:27], s[16:17], v[8:9], v[130:131]
	v_fmac_f64_e32 v[130:131], s[18:19], v[8:9]
	v_fmac_f64_e32 v[26:27], s[20:21], v[4:5]
	;; [unrolled: 1-line block ×3, first 2 shown]
	v_add_f64 v[4:5], v[144:145], -v[146:147]
	v_add_f64 v[8:9], v[150:151], -v[148:149]
	v_add_f64 v[4:5], v[4:5], v[8:9]
	v_add_f64 v[8:9], v[146:147], v[148:149]
	v_fma_f64 v[32:33], -0.5, v[8:9], v[124:125]
	v_add_f64 v[8:9], v[42:43], -v[52:53]
	v_fmac_f64_e32 v[26:27], s[14:15], v[10:11]
	v_fmac_f64_e32 v[130:131], s[14:15], v[10:11]
	v_add_f64 v[10:11], v[48:49], -v[50:51]
	v_fma_f64 v[36:37], s[16:17], v[8:9], v[32:33]
	v_fmac_f64_e32 v[32:33], s[18:19], v[8:9]
	v_fmac_f64_e32 v[132:133], v[34:35], v[72:73]
	;; [unrolled: 1-line block ×4, first 2 shown]
	v_add_f64 v[34:35], v[144:145], v[150:151]
	v_fmac_f64_e32 v[36:37], s[14:15], v[4:5]
	v_fmac_f64_e32 v[32:33], s[14:15], v[4:5]
	v_add_f64 v[4:5], v[124:125], v[144:145]
	v_fmac_f64_e32 v[124:125], -0.5, v[34:35]
	v_fma_f64 v[40:41], s[18:19], v[10:11], v[124:125]
	v_fmac_f64_e32 v[124:125], s[16:17], v[10:11]
	v_add_f64 v[4:5], v[4:5], v[146:147]
	v_fmac_f64_e32 v[70:71], v[38:39], v[104:105]
	v_add_f64 v[34:35], v[146:147], -v[144:145]
	v_add_f64 v[38:39], v[148:149], -v[150:151]
	v_fmac_f64_e32 v[40:41], s[10:11], v[8:9]
	v_fmac_f64_e32 v[124:125], s[20:21], v[8:9]
	v_add_f64 v[4:5], v[4:5], v[148:149]
	v_add_f64 v[8:9], v[126:127], v[42:43]
	;; [unrolled: 1-line block ×6, first 2 shown]
	v_fmac_f64_e32 v[40:41], s[14:15], v[34:35]
	v_fmac_f64_e32 v[124:125], s[14:15], v[34:35]
	v_add_f64 v[8:9], v[8:9], v[50:51]
	v_fma_f64 v[34:35], -0.5, v[4:5], v[126:127]
	v_add_f64 v[4:5], v[144:145], -v[150:151]
	v_add_f64 v[10:11], v[42:43], -v[48:49]
	;; [unrolled: 1-line block ×3, first 2 shown]
	v_add_f64 v[46:47], v[8:9], v[52:53]
	v_add_f64 v[8:9], v[146:147], -v[148:149]
	v_add_f64 v[10:11], v[10:11], v[38:39]
	v_fma_f64 v[38:39], s[18:19], v[4:5], v[34:35]
	v_fmac_f64_e32 v[34:35], s[16:17], v[4:5]
	v_fmac_f64_e32 v[38:39], s[20:21], v[8:9]
	v_fmac_f64_e32 v[34:35], s[10:11], v[8:9]
	v_fmac_f64_e32 v[38:39], s[14:15], v[10:11]
	v_fmac_f64_e32 v[34:35], s[14:15], v[10:11]
	v_add_f64 v[10:11], v[42:43], v[52:53]
	v_fmac_f64_e32 v[126:127], -0.5, v[10:11]
	v_add_f64 v[10:11], v[48:49], -v[42:43]
	v_add_f64 v[42:43], v[50:51], -v[52:53]
	v_add_f64 v[10:11], v[10:11], v[42:43]
	v_fma_f64 v[42:43], s[16:17], v[8:9], v[126:127]
	v_fmac_f64_e32 v[126:127], s[18:19], v[8:9]
	v_fmac_f64_e32 v[42:43], s[20:21], v[4:5]
	v_fmac_f64_e32 v[126:127], s[10:11], v[4:5]
	v_add_f64 v[4:5], v[54:55], -v[138:139]
	v_add_f64 v[8:9], v[142:143], -v[140:141]
	v_add_f64 v[4:5], v[4:5], v[8:9]
	v_add_f64 v[8:9], v[138:139], v[140:141]
	v_fma_f64 v[48:49], -0.5, v[8:9], v[12:13]
	v_add_f64 v[8:9], v[70:71], -v[136:137]
	v_fmac_f64_e32 v[42:43], s[14:15], v[10:11]
	v_fmac_f64_e32 v[126:127], s[14:15], v[10:11]
	v_add_f64 v[10:11], v[132:133], -v[134:135]
	v_fma_f64 v[52:53], s[16:17], v[8:9], v[48:49]
	v_fmac_f64_e32 v[48:49], s[18:19], v[8:9]
	v_fmac_f64_e32 v[52:53], s[10:11], v[10:11]
	v_fmac_f64_e32 v[48:49], s[20:21], v[10:11]
	v_add_f64 v[50:51], v[54:55], v[142:143]
	v_fmac_f64_e32 v[52:53], s[14:15], v[4:5]
	v_fmac_f64_e32 v[48:49], s[14:15], v[4:5]
	v_add_f64 v[4:5], v[12:13], v[54:55]
	v_fmac_f64_e32 v[12:13], -0.5, v[50:51]
	v_add_f64 v[50:51], v[138:139], -v[54:55]
	v_add_f64 v[144:145], v[140:141], -v[142:143]
	v_add_f64 v[50:51], v[50:51], v[144:145]
	v_fma_f64 v[144:145], s[18:19], v[10:11], v[12:13]
	v_fmac_f64_e32 v[12:13], s[16:17], v[10:11]
	v_add_f64 v[4:5], v[4:5], v[138:139]
	v_fmac_f64_e32 v[144:145], s[10:11], v[8:9]
	v_fmac_f64_e32 v[12:13], s[20:21], v[8:9]
	v_add_f64 v[4:5], v[4:5], v[140:141]
	v_add_f64 v[8:9], v[14:15], v[70:71]
	;; [unrolled: 1-line block ×5, first 2 shown]
	v_fmac_f64_e32 v[144:145], s[14:15], v[50:51]
	v_fmac_f64_e32 v[12:13], s[14:15], v[50:51]
	v_add_f64 v[8:9], v[8:9], v[134:135]
	v_fma_f64 v[50:51], -0.5, v[4:5], v[14:15]
	v_add_f64 v[4:5], v[54:55], -v[142:143]
	v_add_f64 v[10:11], v[70:71], -v[132:133]
	;; [unrolled: 1-line block ×3, first 2 shown]
	v_add_f64 v[150:151], v[8:9], v[136:137]
	v_add_f64 v[8:9], v[138:139], -v[140:141]
	v_add_f64 v[10:11], v[10:11], v[54:55]
	v_fma_f64 v[54:55], s[18:19], v[4:5], v[50:51]
	v_fmac_f64_e32 v[50:51], s[16:17], v[4:5]
	v_fmac_f64_e32 v[54:55], s[20:21], v[8:9]
	;; [unrolled: 1-line block ×5, first 2 shown]
	v_add_f64 v[10:11], v[70:71], v[136:137]
	v_fmac_f64_e32 v[14:15], -0.5, v[10:11]
	v_fma_f64 v[146:147], s[16:17], v[8:9], v[14:15]
	v_fmac_f64_e32 v[14:15], s[18:19], v[8:9]
	v_add_f64 v[10:11], v[132:133], -v[70:71]
	v_add_f64 v[70:71], v[134:135], -v[136:137]
	v_fmac_f64_e32 v[146:147], s[20:21], v[4:5]
	v_fmac_f64_e32 v[14:15], s[10:11], v[4:5]
	v_add_f64 v[4:5], v[64:65], -v[66:67]
	v_add_f64 v[8:9], v[6:7], -v[68:69]
	v_add_f64 v[10:11], v[10:11], v[70:71]
	v_add_f64 v[8:9], v[4:5], v[8:9]
	;; [unrolled: 1-line block ×3, first 2 shown]
	v_fmac_f64_e32 v[146:147], s[14:15], v[10:11]
	v_fmac_f64_e32 v[14:15], s[14:15], v[10:11]
	v_fma_f64 v[196:197], -0.5, v[4:5], v[0:1]
	v_add_f64 v[10:11], v[56:57], -v[62:63]
	v_add_f64 v[70:71], v[58:59], -v[60:61]
	v_fma_f64 v[4:5], s[16:17], v[10:11], v[196:197]
	v_fmac_f64_e32 v[196:197], s[18:19], v[10:11]
	v_fmac_f64_e32 v[4:5], s[10:11], v[70:71]
	;; [unrolled: 1-line block ×5, first 2 shown]
	v_add_f64 v[8:9], v[0:1], v[64:65]
	v_add_f64 v[132:133], v[64:65], v[6:7]
	v_fmac_f64_e32 v[0:1], -0.5, v[132:133]
	v_add_f64 v[8:9], v[8:9], v[66:67]
	v_fma_f64 v[200:201], s[18:19], v[70:71], v[0:1]
	v_fmac_f64_e32 v[0:1], s[16:17], v[70:71]
	v_add_f64 v[8:9], v[8:9], v[68:69]
	v_add_f64 v[70:71], v[58:59], v[60:61]
	v_add_f64 v[132:133], v[66:67], -v[64:65]
	v_add_f64 v[134:135], v[68:69], -v[6:7]
	v_add_f64 v[8:9], v[8:9], v[6:7]
	v_fma_f64 v[198:199], -0.5, v[70:71], v[2:3]
	v_add_f64 v[64:65], v[64:65], -v[6:7]
	v_add_f64 v[66:67], v[66:67], -v[68:69]
	;; [unrolled: 1-line block ×4, first 2 shown]
	v_add_f64 v[68:69], v[6:7], v[68:69]
	v_fma_f64 v[6:7], s[18:19], v[64:65], v[198:199]
	v_fmac_f64_e32 v[198:199], s[16:17], v[64:65]
	v_fmac_f64_e32 v[6:7], s[20:21], v[66:67]
	;; [unrolled: 1-line block ×5, first 2 shown]
	v_add_f64 v[68:69], v[56:57], v[62:63]
	v_fmac_f64_e32 v[200:201], s[10:11], v[10:11]
	v_fmac_f64_e32 v[0:1], s[20:21], v[10:11]
	v_add_f64 v[10:11], v[2:3], v[56:57]
	v_fmac_f64_e32 v[2:3], -0.5, v[68:69]
	v_add_f64 v[10:11], v[10:11], v[58:59]
	v_add_f64 v[56:57], v[58:59], -v[56:57]
	v_add_f64 v[58:59], v[60:61], -v[62:63]
	v_fma_f64 v[202:203], s[16:17], v[66:67], v[2:3]
	v_fmac_f64_e32 v[2:3], s[18:19], v[66:67]
	v_add_f64 v[56:57], v[56:57], v[58:59]
	v_fmac_f64_e32 v[202:203], s[20:21], v[64:65]
	v_fmac_f64_e32 v[2:3], s[10:11], v[64:65]
	;; [unrolled: 1-line block ×4, first 2 shown]
	v_mul_u32_u24_e32 v56, 25, v101
	v_add_lshl_u32 v56, v56, v165, 4
	ds_write_b128 v56, v[28:31]
	ds_write_b128 v56, v[20:23] offset:80
	ds_write_b128 v56, v[24:27] offset:160
	;; [unrolled: 1-line block ×4, first 2 shown]
	v_mul_u32_u24_e32 v16, 25, v166
	v_add_lshl_u32 v16, v16, v167, 4
	ds_write_b128 v16, v[44:47]
	ds_write_b128 v16, v[36:39] offset:80
	ds_write_b128 v16, v[40:43] offset:160
	ds_write_b128 v16, v[124:127] offset:240
	v_accvgpr_write_b32 a95, v16
	ds_write_b128 v16, v[32:35] offset:320
	v_mad_legacy_u16 v16, v168, 25, v169
	v_lshlrev_b32_e32 v16, 4, v16
	v_add_f64 v[132:133], v[132:133], v[134:135]
	v_add_f64 v[10:11], v[10:11], v[60:61]
	ds_write_b128 v16, v[148:151]
	ds_write_b128 v16, v[52:55] offset:80
	ds_write_b128 v16, v[144:147] offset:160
	;; [unrolled: 1-line block ×3, first 2 shown]
	v_mad_legacy_u16 v12, v170, 25, v171
	v_fmac_f64_e32 v[200:201], s[14:15], v[132:133]
	v_fmac_f64_e32 v[0:1], s[14:15], v[132:133]
	v_add_f64 v[10:11], v[10:11], v[62:63]
	v_accvgpr_write_b32 a94, v56
	v_accvgpr_write_b32 a100, v16
	;; [unrolled: 1-line block ×3, first 2 shown]
	ds_write_b128 v16, v[48:51] offset:320
	s_and_saveexec_b64 s[10:11], s[2:3]
	s_cbranch_execz .LBB0_11
; %bb.10:
	v_accvgpr_read_b32 v12, a101
	v_lshlrev_b32_e32 v12, 4, v12
	ds_write_b128 v12, v[8:11]
	ds_write_b128 v12, v[4:7] offset:80
	ds_write_b128 v12, v[200:203] offset:160
	;; [unrolled: 1-line block ×4, first 2 shown]
.LBB0_11:
	s_or_b64 exec, exec, s[10:11]
	s_waitcnt lgkmcnt(0)
	s_barrier
	ds_read_b128 v[192:195], v100
	ds_read_b128 v[188:191], v100 offset:2000
	ds_read_b128 v[48:51], v100 offset:12800
	;; [unrolled: 1-line block ×14, first 2 shown]
	s_and_saveexec_b64 s[10:11], s[2:3]
	s_cbranch_execz .LBB0_13
; %bb.12:
	ds_read_b128 v[8:11], v100 offset:6000
	ds_read_b128 v[4:7], v100 offset:12400
	;; [unrolled: 1-line block ×5, first 2 shown]
.LBB0_13:
	s_or_b64 exec, exec, s[10:11]
	v_mov_b32_e32 v66, 41
	v_mul_lo_u16_sdwa v60, v224, v66 dst_sel:DWORD dst_unused:UNUSED_PAD src0_sel:BYTE_0 src1_sel:DWORD
	v_lshrrev_b16_e32 v101, 10, v60
	v_mul_lo_u16_e32 v60, 25, v101
	v_sub_u16_e32 v60, v224, v60
	v_and_b32_e32 v218, 0xff, v60
	v_lshlrev_b32_e32 v60, 6, v218
	global_load_dwordx4 v[140:143], v60, s[0:1] offset:368
	global_load_dwordx4 v[144:147], v60, s[0:1] offset:352
	;; [unrolled: 1-line block ×4, first 2 shown]
	s_movk_i32 s10, 0x47af
	s_mov_b32 s14, 0x134454ff
	s_mov_b32 s15, 0x3fee6f0e
	;; [unrolled: 1-line block ×5, first 2 shown]
	s_waitcnt vmcnt(0) lgkmcnt(8)
	v_mul_f64 v[60:61], v[58:59], v[154:155]
	v_fma_f64 v[60:61], v[56:57], v[152:153], -v[60:61]
	v_mul_f64 v[56:57], v[56:57], v[154:155]
	v_fmac_f64_e32 v[56:57], v[58:59], v[152:153]
	v_mul_f64 v[58:59], v[50:51], v[150:151]
	v_fma_f64 v[62:63], v[48:49], v[148:149], -v[58:59]
	v_mul_f64 v[58:59], v[48:49], v[150:151]
	s_waitcnt lgkmcnt(4)
	v_mul_f64 v[48:49], v[54:55], v[146:147]
	v_fma_f64 v[64:65], v[52:53], v[144:145], -v[48:49]
	v_mul_f64 v[48:49], v[46:47], v[142:143]
	v_fma_f64 v[68:69], v[44:45], v[140:141], -v[48:49]
	v_mul_f64 v[44:45], v[44:45], v[142:143]
	v_fmac_f64_e32 v[44:45], v[46:47], v[140:141]
	v_mul_lo_u16_sdwa v46, v164, v66 dst_sel:DWORD dst_unused:UNUSED_PAD src0_sel:BYTE_0 src1_sel:DWORD
	v_lshrrev_b16_e32 v219, 10, v46
	v_mul_lo_u16_e32 v46, 25, v219
	v_sub_u16_e32 v46, v164, v46
	v_and_b32_e32 v220, 0xff, v46
	v_lshlrev_b32_e32 v46, 6, v220
	global_load_dwordx4 v[156:159], v46, s[0:1] offset:368
	global_load_dwordx4 v[160:163], v46, s[0:1] offset:352
	;; [unrolled: 1-line block ×4, first 2 shown]
	v_fmac_f64_e32 v[58:59], v[50:51], v[148:149]
	v_mul_f64 v[50:51], v[52:53], v[146:147]
	v_fmac_f64_e32 v[50:51], v[54:55], v[144:145]
	v_mov_b32_e32 v49, 0
	s_waitcnt vmcnt(3)
	v_mul_f64 v[70:71], v[28:29], v[158:159]
	v_fmac_f64_e32 v[70:71], v[30:31], v[156:157]
	s_waitcnt vmcnt(1)
	v_mul_f64 v[54:55], v[32:33], v[166:167]
	s_waitcnt vmcnt(0)
	v_mul_f64 v[46:47], v[42:43], v[170:171]
	v_fma_f64 v[46:47], v[40:41], v[168:169], -v[46:47]
	v_mul_f64 v[52:53], v[40:41], v[170:171]
	v_mul_f64 v[40:41], v[34:35], v[166:167]
	v_fma_f64 v[128:129], v[32:33], v[164:165], -v[40:41]
	s_waitcnt lgkmcnt(2)
	v_mul_f64 v[32:33], v[38:39], v[162:163]
	v_fma_f64 v[130:131], v[36:37], v[160:161], -v[32:33]
	v_mul_f64 v[32:33], v[30:31], v[158:159]
	v_fmac_f64_e32 v[52:53], v[42:43], v[168:169]
	v_fma_f64 v[42:43], v[28:29], v[156:157], -v[32:33]
	v_mul_u32_u24_sdwa v28, v172, s10 dst_sel:DWORD dst_unused:UNUSED_PAD src0_sel:WORD_0 src1_sel:DWORD
	v_sub_u16_sdwa v29, v172, v28 dst_sel:DWORD dst_unused:UNUSED_PAD src0_sel:DWORD src1_sel:WORD_1
	v_lshrrev_b16_e32 v29, 1, v29
	v_add_u16_sdwa v28, v29, v28 dst_sel:DWORD dst_unused:UNUSED_PAD src0_sel:DWORD src1_sel:WORD_1
	v_lshrrev_b16_e32 v221, 4, v28
	v_mul_lo_u16_e32 v28, 25, v221
	v_sub_u16_e32 v222, v172, v28
	v_lshlrev_b16_e32 v48, 6, v222
	v_lshl_add_u64 v[28:29], s[0:1], 0, v[48:49]
	global_load_dwordx4 v[172:175], v[28:29], off offset:368
	global_load_dwordx4 v[176:179], v[28:29], off offset:352
	global_load_dwordx4 v[180:183], v[28:29], off offset:336
	global_load_dwordx4 v[184:187], v[28:29], off offset:320
	v_mul_f64 v[66:67], v[36:37], v[162:163]
	v_fmac_f64_e32 v[54:55], v[34:35], v[164:165]
	v_fmac_f64_e32 v[66:67], v[38:39], v[160:161]
	s_waitcnt vmcnt(3) lgkmcnt(0)
	v_mul_f64 v[134:135], v[16:17], v[174:175]
	s_waitcnt vmcnt(2)
	v_mul_f64 v[132:133], v[20:21], v[178:179]
	v_fmac_f64_e32 v[132:133], v[22:23], v[176:177]
	s_waitcnt vmcnt(0)
	v_mul_f64 v[28:29], v[126:127], v[186:187]
	v_fma_f64 v[136:137], v[124:125], v[184:185], -v[28:29]
	v_mul_f64 v[124:125], v[124:125], v[186:187]
	v_mul_f64 v[28:29], v[26:27], v[182:183]
	v_fmac_f64_e32 v[124:125], v[126:127], v[184:185]
	v_fma_f64 v[138:139], v[24:25], v[180:181], -v[28:29]
	v_mul_f64 v[126:127], v[24:25], v[182:183]
	v_mul_f64 v[24:25], v[22:23], v[178:179]
	v_fma_f64 v[206:207], v[20:21], v[176:177], -v[24:25]
	v_mul_f64 v[20:21], v[18:19], v[174:175]
	v_fma_f64 v[208:209], v[16:17], v[172:173], -v[20:21]
	v_mul_u32_u24_sdwa v16, v204, s10 dst_sel:DWORD dst_unused:UNUSED_PAD src0_sel:WORD_0 src1_sel:DWORD
	v_sub_u16_sdwa v17, v204, v16 dst_sel:DWORD dst_unused:UNUSED_PAD src0_sel:DWORD src1_sel:WORD_1
	v_lshrrev_b16_e32 v17, 1, v17
	v_add_u16_sdwa v16, v17, v16 dst_sel:DWORD dst_unused:UNUSED_PAD src0_sel:DWORD src1_sel:WORD_1
	v_lshrrev_b16_e32 v16, 4, v16
	v_mul_lo_u16_e32 v16, 25, v16
	v_sub_u16_e32 v223, v204, v16
	v_lshlrev_b16_e32 v48, 6, v223
	v_lshl_add_u64 v[16:17], s[0:1], 0, v[48:49]
	v_fmac_f64_e32 v[126:127], v[26:27], v[180:181]
	v_fmac_f64_e32 v[134:135], v[18:19], v[172:173]
	global_load_dwordx4 v[18:21], v[16:17], off offset:368
	global_load_dwordx4 v[22:25], v[16:17], off offset:352
	;; [unrolled: 1-line block ×4, first 2 shown]
	s_mov_b32 s10, 0x4755a5e
	s_mov_b32 s11, 0x3fe2cf23
	;; [unrolled: 1-line block ×3, first 2 shown]
	v_mul_u32_u24_e32 v48, 0x7d, v101
	v_add_lshl_u32 v48, v48, v218, 4
	s_barrier
	v_accvgpr_write_b32 a107, v48
	s_waitcnt vmcnt(3)
	v_accvgpr_write_b32 a89, v21
	s_waitcnt vmcnt(2)
	v_mul_f64 v[216:217], v[0:1], v[24:25]
	s_waitcnt vmcnt(1)
	v_mul_f64 v[214:215], v[200:201], v[28:29]
	;; [unrolled: 2-line block ×3, first 2 shown]
	v_fma_f64 v[204:205], v[4:5], v[30:31], -v[16:17]
	v_mul_f64 v[212:213], v[4:5], v[32:33]
	v_mul_f64 v[4:5], v[202:203], v[28:29]
	v_fma_f64 v[210:211], v[200:201], v[26:27], -v[4:5]
	v_mul_f64 v[4:5], v[2:3], v[24:25]
	v_fma_f64 v[200:201], v[0:1], v[22:23], -v[4:5]
	v_mul_f64 v[0:1], v[198:199], v[20:21]
	v_fmac_f64_e32 v[214:215], v[202:203], v[26:27]
	v_fma_f64 v[202:203], v[196:197], v[18:19], -v[0:1]
	v_add_f64 v[0:1], v[192:193], v[60:61]
	v_add_f64 v[0:1], v[0:1], v[62:63]
	;; [unrolled: 1-line block ×3, first 2 shown]
	v_mul_f64 v[196:197], v[196:197], v[20:21]
	v_accvgpr_write_b32 a88, v20
	v_accvgpr_write_b32 a87, v19
	v_accvgpr_write_b32 a86, v18
	v_add_f64 v[20:21], v[0:1], v[68:69]
	v_add_f64 v[0:1], v[62:63], v[64:65]
	v_accvgpr_write_b32 a93, v25
	v_fma_f64 v[16:17], -0.5, v[0:1], v[192:193]
	v_add_f64 v[0:1], v[56:57], -v[44:45]
	v_fmac_f64_e32 v[212:213], v[6:7], v[30:31]
	v_accvgpr_write_b32 a92, v24
	v_accvgpr_write_b32 a91, v23
	;; [unrolled: 1-line block ×3, first 2 shown]
	v_fmac_f64_e32 v[216:217], v[2:3], v[22:23]
	v_fma_f64 v[24:25], s[14:15], v[0:1], v[16:17]
	v_add_f64 v[2:3], v[58:59], -v[50:51]
	v_add_f64 v[4:5], v[60:61], -v[62:63]
	;; [unrolled: 1-line block ×3, first 2 shown]
	v_fmac_f64_e32 v[16:17], s[18:19], v[0:1]
	v_fmac_f64_e32 v[24:25], s[10:11], v[2:3]
	v_add_f64 v[4:5], v[4:5], v[6:7]
	v_fmac_f64_e32 v[16:17], s[20:21], v[2:3]
	v_fmac_f64_e32 v[24:25], s[16:17], v[4:5]
	;; [unrolled: 1-line block ×3, first 2 shown]
	v_add_f64 v[4:5], v[60:61], v[68:69]
	v_accvgpr_write_b32 a99, v29
	v_fmac_f64_e32 v[192:193], -0.5, v[4:5]
	v_accvgpr_write_b32 a98, v28
	v_accvgpr_write_b32 a97, v27
	;; [unrolled: 1-line block ×3, first 2 shown]
	v_fma_f64 v[28:29], s[18:19], v[2:3], v[192:193]
	v_fmac_f64_e32 v[192:193], s[14:15], v[2:3]
	v_fmac_f64_e32 v[28:29], s[10:11], v[0:1]
	;; [unrolled: 1-line block ×3, first 2 shown]
	v_add_f64 v[0:1], v[194:195], v[56:57]
	v_add_f64 v[0:1], v[0:1], v[58:59]
	;; [unrolled: 1-line block ×3, first 2 shown]
	v_add_f64 v[4:5], v[62:63], -v[60:61]
	v_add_f64 v[6:7], v[64:65], -v[68:69]
	v_add_f64 v[22:23], v[0:1], v[44:45]
	v_add_f64 v[0:1], v[58:59], v[50:51]
	v_fmac_f64_e32 v[196:197], v[198:199], v[18:19]
	v_add_f64 v[4:5], v[4:5], v[6:7]
	v_fma_f64 v[18:19], -0.5, v[0:1], v[194:195]
	v_add_f64 v[0:1], v[60:61], -v[68:69]
	v_fmac_f64_e32 v[28:29], s[16:17], v[4:5]
	v_fmac_f64_e32 v[192:193], s[16:17], v[4:5]
	v_fma_f64 v[26:27], s[18:19], v[0:1], v[18:19]
	v_add_f64 v[2:3], v[62:63], -v[64:65]
	v_add_f64 v[4:5], v[56:57], -v[58:59]
	;; [unrolled: 1-line block ×3, first 2 shown]
	v_fmac_f64_e32 v[18:19], s[14:15], v[0:1]
	v_fmac_f64_e32 v[26:27], s[20:21], v[2:3]
	v_add_f64 v[4:5], v[4:5], v[6:7]
	v_fmac_f64_e32 v[18:19], s[10:11], v[2:3]
	v_fmac_f64_e32 v[26:27], s[16:17], v[4:5]
	v_fmac_f64_e32 v[18:19], s[16:17], v[4:5]
	v_add_f64 v[4:5], v[56:57], v[44:45]
	v_accvgpr_write_b32 a105, v33
	v_fmac_f64_e32 v[194:195], -0.5, v[4:5]
	v_accvgpr_write_b32 a104, v32
	v_accvgpr_write_b32 a103, v31
	;; [unrolled: 1-line block ×3, first 2 shown]
	v_fma_f64 v[30:31], s[14:15], v[2:3], v[194:195]
	v_fmac_f64_e32 v[194:195], s[18:19], v[2:3]
	v_fmac_f64_e32 v[30:31], s[20:21], v[0:1]
	v_fmac_f64_e32 v[194:195], s[10:11], v[0:1]
	v_add_f64 v[0:1], v[188:189], v[46:47]
	v_add_f64 v[0:1], v[0:1], v[128:129]
	v_add_f64 v[0:1], v[0:1], v[130:131]
	v_add_f64 v[4:5], v[58:59], -v[56:57]
	v_add_f64 v[6:7], v[50:51], -v[44:45]
	v_add_f64 v[36:37], v[0:1], v[42:43]
	v_add_f64 v[0:1], v[128:129], v[130:131]
	v_add_f64 v[4:5], v[4:5], v[6:7]
	v_fma_f64 v[32:33], -0.5, v[0:1], v[188:189]
	v_add_f64 v[0:1], v[52:53], -v[70:71]
	v_fmac_f64_e32 v[30:31], s[16:17], v[4:5]
	v_fmac_f64_e32 v[194:195], s[16:17], v[4:5]
	v_fma_f64 v[40:41], s[14:15], v[0:1], v[32:33]
	v_add_f64 v[2:3], v[54:55], -v[66:67]
	v_add_f64 v[4:5], v[46:47], -v[128:129]
	v_add_f64 v[6:7], v[42:43], -v[130:131]
	v_fmac_f64_e32 v[32:33], s[18:19], v[0:1]
	v_fmac_f64_e32 v[40:41], s[10:11], v[2:3]
	v_add_f64 v[4:5], v[4:5], v[6:7]
	v_fmac_f64_e32 v[32:33], s[20:21], v[2:3]
	v_fmac_f64_e32 v[40:41], s[16:17], v[4:5]
	v_fmac_f64_e32 v[32:33], s[16:17], v[4:5]
	v_add_f64 v[4:5], v[46:47], v[42:43]
	v_fmac_f64_e32 v[188:189], -0.5, v[4:5]
	v_fma_f64 v[44:45], s[18:19], v[2:3], v[188:189]
	v_fmac_f64_e32 v[188:189], s[14:15], v[2:3]
	v_fmac_f64_e32 v[44:45], s[10:11], v[0:1]
	v_fmac_f64_e32 v[188:189], s[20:21], v[0:1]
	v_add_f64 v[0:1], v[190:191], v[52:53]
	v_add_f64 v[0:1], v[0:1], v[54:55]
	v_add_f64 v[0:1], v[0:1], v[66:67]
	v_add_f64 v[4:5], v[128:129], -v[46:47]
	v_add_f64 v[6:7], v[130:131], -v[42:43]
	v_add_f64 v[38:39], v[0:1], v[70:71]
	v_add_f64 v[0:1], v[54:55], v[66:67]
	v_add_f64 v[4:5], v[4:5], v[6:7]
	v_fma_f64 v[34:35], -0.5, v[0:1], v[190:191]
	v_add_f64 v[0:1], v[46:47], -v[42:43]
	v_fmac_f64_e32 v[44:45], s[16:17], v[4:5]
	v_fmac_f64_e32 v[188:189], s[16:17], v[4:5]
	v_fma_f64 v[42:43], s[18:19], v[0:1], v[34:35]
	v_add_f64 v[2:3], v[128:129], -v[130:131]
	v_add_f64 v[4:5], v[52:53], -v[54:55]
	v_add_f64 v[6:7], v[70:71], -v[66:67]
	v_fmac_f64_e32 v[34:35], s[14:15], v[0:1]
	v_fmac_f64_e32 v[42:43], s[20:21], v[2:3]
	v_add_f64 v[4:5], v[4:5], v[6:7]
	v_fmac_f64_e32 v[34:35], s[10:11], v[2:3]
	v_fmac_f64_e32 v[42:43], s[16:17], v[4:5]
	v_fmac_f64_e32 v[34:35], s[16:17], v[4:5]
	v_add_f64 v[4:5], v[52:53], v[70:71]
	v_fmac_f64_e32 v[190:191], -0.5, v[4:5]
	;; [unrolled: 28-line block ×4, first 2 shown]
	v_fma_f64 v[64:65], s[14:15], v[2:3], v[14:15]
	v_fmac_f64_e32 v[14:15], s[18:19], v[2:3]
	v_fmac_f64_e32 v[64:65], s[20:21], v[0:1]
	v_add_f64 v[4:5], v[126:127], -v[124:125]
	v_add_f64 v[6:7], v[132:133], -v[134:135]
	v_fmac_f64_e32 v[14:15], s[10:11], v[0:1]
	v_add_f64 v[0:1], v[210:211], v[200:201]
	v_add_f64 v[4:5], v[4:5], v[6:7]
	v_fma_f64 v[0:1], -0.5, v[0:1], v[8:9]
	v_add_f64 v[2:3], v[212:213], -v[196:197]
	v_fmac_f64_e32 v[64:65], s[16:17], v[4:5]
	v_fmac_f64_e32 v[14:15], s[16:17], v[4:5]
	v_fma_f64 v[248:249], s[14:15], v[2:3], v[0:1]
	v_add_f64 v[6:7], v[214:215], -v[216:217]
	v_add_f64 v[4:5], v[204:205], -v[210:211]
	;; [unrolled: 1-line block ×3, first 2 shown]
	v_fmac_f64_e32 v[0:1], s[18:19], v[2:3]
	v_fmac_f64_e32 v[248:249], s[10:11], v[6:7]
	v_add_f64 v[4:5], v[4:5], v[66:67]
	v_fmac_f64_e32 v[0:1], s[20:21], v[6:7]
	v_fmac_f64_e32 v[248:249], s[16:17], v[4:5]
	;; [unrolled: 1-line block ×3, first 2 shown]
	v_add_f64 v[4:5], v[204:205], v[202:203]
	v_fma_f64 v[4:5], -0.5, v[4:5], v[8:9]
	v_fma_f64 v[252:253], s[18:19], v[6:7], v[4:5]
	v_add_f64 v[66:67], v[210:211], -v[204:205]
	v_add_f64 v[68:69], v[200:201], -v[202:203]
	v_fmac_f64_e32 v[4:5], s[14:15], v[6:7]
	v_fmac_f64_e32 v[252:253], s[10:11], v[2:3]
	v_add_f64 v[66:67], v[66:67], v[68:69]
	v_fmac_f64_e32 v[4:5], s[20:21], v[2:3]
	v_add_f64 v[2:3], v[214:215], v[216:217]
	v_fmac_f64_e32 v[252:253], s[16:17], v[66:67]
	v_fmac_f64_e32 v[4:5], s[16:17], v[66:67]
	v_fma_f64 v[2:3], -0.5, v[2:3], v[10:11]
	v_add_f64 v[66:67], v[204:205], -v[202:203]
	v_fma_f64 v[250:251], s[18:19], v[66:67], v[2:3]
	v_add_f64 v[68:69], v[210:211], -v[200:201]
	v_add_f64 v[6:7], v[212:213], -v[214:215]
	;; [unrolled: 1-line block ×3, first 2 shown]
	v_fmac_f64_e32 v[2:3], s[14:15], v[66:67]
	v_fmac_f64_e32 v[250:251], s[20:21], v[68:69]
	v_add_f64 v[6:7], v[6:7], v[70:71]
	v_fmac_f64_e32 v[2:3], s[10:11], v[68:69]
	v_fmac_f64_e32 v[250:251], s[16:17], v[6:7]
	;; [unrolled: 1-line block ×3, first 2 shown]
	v_add_f64 v[6:7], v[212:213], v[196:197]
	v_fma_f64 v[6:7], -0.5, v[6:7], v[10:11]
	v_fma_f64 v[254:255], s[14:15], v[68:69], v[6:7]
	v_fmac_f64_e32 v[6:7], s[18:19], v[68:69]
	ds_write_b128 v48, v[20:23]
	ds_write_b128 v48, v[24:27] offset:400
	ds_write_b128 v48, v[28:31] offset:800
	;; [unrolled: 1-line block ×4, first 2 shown]
	v_mul_u32_u24_e32 v16, 0x7d, v219
	v_fmac_f64_e32 v[6:7], s[10:11], v[66:67]
	s_movk_i32 s10, 0x7d
	v_add_lshl_u32 v16, v16, v220, 4
	ds_write_b128 v16, v[36:39]
	ds_write_b128 v16, v[40:43] offset:400
	ds_write_b128 v16, v[44:47] offset:800
	;; [unrolled: 1-line block ×3, first 2 shown]
	v_accvgpr_write_b32 a108, v16
	ds_write_b128 v16, v[32:35] offset:1600
	v_mad_legacy_u16 v16, v221, s10, v222
	v_add_f64 v[70:71], v[214:215], -v[212:213]
	v_add_f64 v[124:125], v[216:217], -v[196:197]
	v_lshlrev_b32_e32 v101, 4, v16
	v_fmac_f64_e32 v[254:255], s[20:21], v[66:67]
	v_add_f64 v[70:71], v[70:71], v[124:125]
	ds_write_b128 v101, v[50:53]
	ds_write_b128 v101, v[58:61] offset:400
	ds_write_b128 v101, v[62:65] offset:800
	;; [unrolled: 1-line block ×4, first 2 shown]
	v_lshlrev_b32_e32 v12, 4, v223
	v_fmac_f64_e32 v[254:255], s[16:17], v[70:71]
	v_fmac_f64_e32 v[6:7], s[16:17], v[70:71]
	v_accvgpr_write_b32 a106, v12
	s_and_saveexec_b64 s[10:11], s[2:3]
	s_cbranch_execz .LBB0_15
; %bb.14:
	v_add_f64 v[10:11], v[10:11], v[212:213]
	v_add_f64 v[8:9], v[8:9], v[204:205]
	;; [unrolled: 1-line block ×8, first 2 shown]
	v_accvgpr_read_b32 v12, a106
	ds_write_b128 v12, v[8:11] offset:30000
	ds_write_b128 v12, v[248:251] offset:30400
	;; [unrolled: 1-line block ×5, first 2 shown]
.LBB0_15:
	s_or_b64 exec, exec, s[10:11]
	s_movk_i32 s10, 0xf0
	v_mov_b64_e32 v[58:59], s[0:1]
	v_lshlrev_b32_e32 v48, 4, v224
	v_mad_u64_u32 v[130:131], s[0:1], v224, s10, v[58:59]
	v_lshl_add_u64 v[56:57], s[12:13], 0, v[48:49]
	s_waitcnt lgkmcnt(0)
	s_barrier
	ds_read_b128 v[8:11], v100
	ds_read_b128 v[60:63], v100 offset:2000
	ds_read_b128 v[68:71], v100 offset:4000
	;; [unrolled: 1-line block ×15, first 2 shown]
	global_load_dwordx4 v[188:191], v[130:131], off offset:1968
	global_load_dwordx4 v[192:195], v[130:131], off offset:1952
	global_load_dwordx4 v[196:199], v[130:131], off offset:1936
	global_load_dwordx4 v[212:215], v[130:131], off offset:1920
	global_load_dwordx4 v[200:203], v[130:131], off offset:2032
	global_load_dwordx4 v[204:207], v[130:131], off offset:2016
	global_load_dwordx4 v[208:211], v[130:131], off offset:2000
	global_load_dwordx4 v[228:231], v[130:131], off offset:1984
	v_accvgpr_write_b32 a8, v224
	global_load_dwordx4 v[216:219], v[130:131], off offset:2096
	global_load_dwordx4 v[220:223], v[130:131], off offset:2080
	;; [unrolled: 1-line block ×7, first 2 shown]
	s_mov_b32 s0, 0x667f3bcd
	s_mov_b32 s1, 0xbfe6a09e
	;; [unrolled: 1-line block ×12, first 2 shown]
	s_waitcnt vmcnt(13) lgkmcnt(12)
	v_mul_f64 v[64:65], v[124:125], v[194:195]
	v_fmac_f64_e32 v[64:65], v[126:127], v[192:193]
	s_waitcnt vmcnt(11)
	v_mul_f64 v[58:59], v[62:63], v[214:215]
	v_fma_f64 v[58:59], v[60:61], v[212:213], -v[58:59]
	v_mul_f64 v[60:61], v[60:61], v[214:215]
	v_fmac_f64_e32 v[60:61], v[62:63], v[212:213]
	v_mul_f64 v[62:63], v[70:71], v[198:199]
	v_fma_f64 v[66:67], v[68:69], v[196:197], -v[62:63]
	v_mul_f64 v[62:63], v[126:127], v[194:195]
	s_waitcnt vmcnt(7) lgkmcnt(10)
	v_mul_f64 v[126:127], v[54:55], v[230:231]
	v_fma_f64 v[126:127], v[52:53], v[228:229], -v[126:127]
	v_mul_f64 v[52:53], v[52:53], v[230:231]
	v_fmac_f64_e32 v[52:53], v[54:55], v[228:229]
	s_waitcnt lgkmcnt(9)
	v_mul_f64 v[54:55], v[50:51], v[210:211]
	v_fma_f64 v[54:55], v[48:49], v[208:209], -v[54:55]
	v_mul_f64 v[128:129], v[48:49], v[210:211]
	s_waitcnt lgkmcnt(8)
	v_mul_f64 v[48:49], v[46:47], v[206:207]
	v_fma_f64 v[48:49], v[44:45], v[204:205], -v[48:49]
	v_mul_f64 v[44:45], v[44:45], v[206:207]
	v_fmac_f64_e32 v[44:45], v[46:47], v[204:205]
	s_waitcnt lgkmcnt(7)
	v_mul_f64 v[46:47], v[42:43], v[202:203]
	v_fma_f64 v[46:47], v[40:41], v[200:201], -v[46:47]
	v_mul_f64 v[40:41], v[40:41], v[202:203]
	v_fmac_f64_e32 v[40:41], v[42:43], v[200:201]
	s_waitcnt vmcnt(3) lgkmcnt(6)
	v_mul_f64 v[42:43], v[38:39], v[242:243]
	v_fma_f64 v[42:43], v[36:37], v[240:241], -v[42:43]
	v_mul_f64 v[36:37], v[36:37], v[242:243]
	v_fmac_f64_e32 v[36:37], v[38:39], v[240:241]
	s_waitcnt lgkmcnt(5)
	v_mul_f64 v[38:39], v[34:35], v[226:227]
	v_fmac_f64_e32 v[128:129], v[50:51], v[208:209]
	v_fma_f64 v[38:39], v[32:33], v[224:225], -v[38:39]
	v_mul_f64 v[50:51], v[32:33], v[226:227]
	s_waitcnt lgkmcnt(4)
	v_mul_f64 v[32:33], v[30:31], v[222:223]
	v_fma_f64 v[32:33], v[28:29], v[220:221], -v[32:33]
	v_mul_f64 v[28:29], v[28:29], v[222:223]
	v_fmac_f64_e32 v[28:29], v[30:31], v[220:221]
	s_waitcnt lgkmcnt(3)
	v_mul_f64 v[30:31], v[26:27], v[218:219]
	v_fma_f64 v[30:31], v[24:25], v[216:217], -v[30:31]
	v_mul_f64 v[24:25], v[24:25], v[218:219]
	v_fmac_f64_e32 v[24:25], v[26:27], v[216:217]
	s_waitcnt vmcnt(0) lgkmcnt(2)
	v_mul_f64 v[26:27], v[22:23], v[246:247]
	v_fma_f64 v[26:27], v[20:21], v[244:245], -v[26:27]
	v_mul_f64 v[20:21], v[20:21], v[246:247]
	v_fmac_f64_e32 v[20:21], v[22:23], v[244:245]
	s_waitcnt lgkmcnt(1)
	v_mul_f64 v[22:23], v[18:19], v[238:239]
	v_fma_f64 v[22:23], v[16:17], v[236:237], -v[22:23]
	v_mul_f64 v[16:17], v[16:17], v[238:239]
	v_mul_f64 v[68:69], v[68:69], v[198:199]
	v_fmac_f64_e32 v[16:17], v[18:19], v[236:237]
	s_waitcnt lgkmcnt(0)
	v_mul_f64 v[18:19], v[14:15], v[234:235]
	v_fmac_f64_e32 v[68:69], v[70:71], v[196:197]
	v_fma_f64 v[62:63], v[124:125], v[192:193], -v[62:63]
	v_mul_f64 v[70:71], v[134:135], v[190:191]
	v_mul_f64 v[124:125], v[132:133], v[190:191]
	v_fma_f64 v[18:19], v[12:13], v[232:233], -v[18:19]
	v_mul_f64 v[12:13], v[12:13], v[234:235]
	v_fma_f64 v[70:71], v[132:133], v[188:189], -v[70:71]
	v_fmac_f64_e32 v[124:125], v[134:135], v[188:189]
	v_fmac_f64_e32 v[12:13], v[14:15], v[232:233]
	;; [unrolled: 1-line block ×3, first 2 shown]
	v_add_f64 v[14:15], v[8:9], -v[46:47]
	v_add_f64 v[30:31], v[70:71], -v[30:31]
	;; [unrolled: 1-line block ×14, first 2 shown]
	v_fma_f64 v[40:41], v[70:71], 2.0, -v[30:31]
	v_fma_f64 v[46:47], v[124:125], 2.0, -v[24:25]
	v_add_f64 v[50:51], v[68:69], -v[50:51]
	v_add_f64 v[22:23], v[54:55], -v[22:23]
	v_fma_f64 v[70:71], v[128:129], 2.0, -v[16:17]
	v_fma_f64 v[58:59], v[58:59], 2.0, -v[42:43]
	v_fma_f64 v[60:61], v[60:61], 2.0, -v[36:37]
	v_fma_f64 v[124:125], v[126:127], 2.0, -v[26:27]
	v_fma_f64 v[52:53], v[52:53], 2.0, -v[20:21]
	v_fma_f64 v[62:63], v[62:63], 2.0, -v[32:33]
	v_fma_f64 v[64:65], v[64:65], 2.0, -v[28:29]
	v_fma_f64 v[48:49], v[48:49], 2.0, -v[18:19]
	v_fma_f64 v[44:45], v[44:45], 2.0, -v[12:13]
	v_add_f64 v[24:25], v[14:15], -v[24:25]
	v_add_f64 v[16:17], v[38:39], -v[16:17]
	v_fma_f64 v[8:9], v[8:9], 2.0, -v[14:15]
	v_fma_f64 v[66:67], v[66:67], 2.0, -v[38:39]
	;; [unrolled: 1-line block ×3, first 2 shown]
	v_add_f64 v[30:31], v[34:35], v[30:31]
	v_fma_f64 v[14:15], v[14:15], 2.0, -v[24:25]
	v_add_f64 v[22:23], v[50:51], v[22:23]
	v_fma_f64 v[38:39], v[38:39], 2.0, -v[16:17]
	v_add_f64 v[124:125], v[58:59], -v[124:125]
	v_add_f64 v[52:53], v[60:61], -v[52:53]
	;; [unrolled: 1-line block ×4, first 2 shown]
	v_fma_f64 v[10:11], v[10:11], 2.0, -v[34:35]
	v_fma_f64 v[68:69], v[68:69], 2.0, -v[50:51]
	;; [unrolled: 1-line block ×6, first 2 shown]
	v_add_f64 v[20:21], v[42:43], -v[20:21]
	v_add_f64 v[26:27], v[36:37], v[26:27]
	v_fma_f64 v[62:63], v[62:63], 2.0, -v[48:49]
	v_fma_f64 v[64:65], v[64:65], 2.0, -v[44:45]
	v_add_f64 v[12:13], v[32:33], -v[12:13]
	v_add_f64 v[18:19], v[28:29], v[18:19]
	v_fma_f64 v[126:127], s[0:1], v[38:39], v[14:15]
	v_fma_f64 v[42:43], v[42:43], 2.0, -v[20:21]
	v_fma_f64 v[36:37], v[36:37], 2.0, -v[26:27]
	;; [unrolled: 1-line block ×4, first 2 shown]
	v_fma_f64 v[128:129], s[0:1], v[50:51], v[34:35]
	v_fmac_f64_e32 v[126:127], s[0:1], v[50:51]
	v_fma_f64 v[134:135], s[10:11], v[22:23], v[30:31]
	v_add_f64 v[62:63], v[58:59], -v[62:63]
	v_add_f64 v[64:65], v[60:61], -v[64:65]
	v_fmac_f64_e32 v[128:129], s[10:11], v[38:39]
	v_fma_f64 v[38:39], v[14:15], 2.0, -v[126:127]
	v_fma_f64 v[132:133], s[10:11], v[16:17], v[24:25]
	v_fmac_f64_e32 v[134:135], s[10:11], v[16:17]
	v_fma_f64 v[14:15], v[58:59], 2.0, -v[62:63]
	v_fma_f64 v[16:17], v[60:61], 2.0, -v[64:65]
	v_fma_f64 v[58:59], s[0:1], v[32:33], v[42:43]
	v_fma_f64 v[60:61], s[0:1], v[28:29], v[36:37]
	v_add_f64 v[136:137], v[124:125], -v[44:45]
	v_fmac_f64_e32 v[132:133], s[0:1], v[22:23]
	v_fmac_f64_e32 v[58:59], s[0:1], v[28:29]
	;; [unrolled: 1-line block ×3, first 2 shown]
	v_fma_f64 v[32:33], v[124:125], 2.0, -v[136:137]
	v_fma_f64 v[124:125], s[10:11], v[12:13], v[20:21]
	v_add_f64 v[40:41], v[8:9], -v[40:41]
	v_add_f64 v[46:47], v[10:11], -v[46:47]
	;; [unrolled: 1-line block ×4, first 2 shown]
	v_fma_f64 v[50:51], v[24:25], 2.0, -v[132:133]
	v_fma_f64 v[24:25], v[42:43], 2.0, -v[58:59]
	v_fma_f64 v[76:77], s[10:11], v[18:19], v[26:27]
	v_fmac_f64_e32 v[124:125], s[0:1], v[18:19]
	v_fma_f64 v[8:9], v[8:9], 2.0, -v[40:41]
	v_fma_f64 v[10:11], v[10:11], 2.0, -v[46:47]
	;; [unrolled: 1-line block ×5, first 2 shown]
	v_add_f64 v[70:71], v[40:41], -v[70:71]
	v_add_f64 v[130:131], v[46:47], v[54:55]
	v_fma_f64 v[28:29], v[36:37], 2.0, -v[60:61]
	v_add_f64 v[138:139], v[52:53], v[48:49]
	v_fmac_f64_e32 v[76:77], s[10:11], v[12:13]
	v_fma_f64 v[42:43], v[20:21], 2.0, -v[124:125]
	v_fma_f64 v[20:21], s[14:15], v[24:25], v[38:39]
	v_add_f64 v[66:67], v[8:9], -v[66:67]
	v_add_f64 v[68:69], v[10:11], -v[68:69]
	v_fma_f64 v[40:41], v[40:41], 2.0, -v[70:71]
	v_fma_f64 v[46:47], v[46:47], 2.0, -v[130:131]
	v_fma_f64 v[54:55], v[30:31], 2.0, -v[134:135]
	v_fma_f64 v[36:37], v[52:53], 2.0, -v[138:139]
	v_fma_f64 v[44:45], v[26:27], 2.0, -v[76:77]
	v_fma_f64 v[22:23], s[14:15], v[28:29], v[34:35]
	v_fmac_f64_e32 v[20:21], s[12:13], v[28:29]
	v_fma_f64 v[8:9], v[8:9], 2.0, -v[66:67]
	v_fma_f64 v[10:11], v[10:11], 2.0, -v[68:69]
	v_fmac_f64_e32 v[22:23], s[16:17], v[24:25]
	v_fma_f64 v[24:25], v[38:39], 2.0, -v[20:21]
	v_fma_f64 v[28:29], s[0:1], v[32:33], v[40:41]
	v_fma_f64 v[30:31], s[0:1], v[36:37], v[46:47]
	;; [unrolled: 1-line block ×3, first 2 shown]
	v_add_f64 v[12:13], v[8:9], -v[14:15]
	v_add_f64 v[14:15], v[10:11], -v[16:17]
	v_fmac_f64_e32 v[28:29], s[0:1], v[36:37]
	v_fmac_f64_e32 v[30:31], s[10:11], v[32:33]
	v_fma_f64 v[36:37], s[12:13], v[42:43], v[50:51]
	v_fmac_f64_e32 v[38:39], s[18:19], v[42:43]
	v_fma_f64 v[16:17], v[8:9], 2.0, -v[12:13]
	v_fma_f64 v[18:19], v[10:11], 2.0, -v[14:15]
	v_fma_f64 v[26:27], v[34:35], 2.0, -v[22:23]
	v_fma_f64 v[34:35], v[46:47], 2.0, -v[30:31]
	v_fmac_f64_e32 v[36:37], s[14:15], v[44:45]
	v_fma_f64 v[42:43], v[54:55], 2.0, -v[38:39]
	v_add_f64 v[44:45], v[66:67], -v[64:65]
	v_add_f64 v[46:47], v[68:69], v[62:63]
	v_fma_f64 v[52:53], s[16:17], v[58:59], v[126:127]
	v_fma_f64 v[54:55], s[16:17], v[60:61], v[128:129]
	;; [unrolled: 1-line block ×6, first 2 shown]
	v_fmac_f64_e32 v[52:53], s[14:15], v[60:61]
	v_fmac_f64_e32 v[54:55], s[18:19], v[58:59]
	;; [unrolled: 1-line block ×6, first 2 shown]
	s_movk_i32 s10, 0x7000
	v_fma_f64 v[32:33], v[40:41], 2.0, -v[28:29]
	v_fma_f64 v[40:41], v[50:51], 2.0, -v[36:37]
	;; [unrolled: 1-line block ×10, first 2 shown]
	ds_write_b128 v100, v[16:19]
	ds_write_b128 v100, v[24:27] offset:2000
	ds_write_b128 v100, v[32:35] offset:4000
	;; [unrolled: 1-line block ×15, first 2 shown]
	v_add_co_u32_e32 v18, vcc, s10, v56
	s_waitcnt lgkmcnt(0)
	s_nop 0
	v_addc_co_u32_e32 v19, vcc, 0, v57, vcc
	s_barrier
	global_load_dwordx4 v[18:21], v[18:19], off offset:3328
	ds_read_b128 v[12:15], v100
	s_mov_b64 s[0:1], 0x7d00
	v_lshl_add_u64 v[16:17], v[56:57], 0, s[0:1]
	s_mov_b32 s0, 0x9000
	s_waitcnt vmcnt(0) lgkmcnt(0)
	v_mul_f64 v[24:25], v[12:13], v[20:21]
	v_mul_f64 v[22:23], v[14:15], v[20:21]
	v_fmac_f64_e32 v[24:25], v[14:15], v[18:19]
	v_add_co_u32_e32 v14, vcc, s0, v56
	v_fma_f64 v[22:23], v[12:13], v[18:19], -v[22:23]
	s_nop 0
	v_addc_co_u32_e32 v15, vcc, 0, v57, vcc
	ds_write_b128 v100, v[22:25]
	global_load_dwordx4 v[22:25], v[14:15], off offset:1536
	ds_read_b128 v[18:21], v100 offset:6400
	s_mov_b32 s0, 0xa000
	s_waitcnt vmcnt(0) lgkmcnt(0)
	v_mul_f64 v[12:13], v[20:21], v[24:25]
	v_fma_f64 v[26:27], v[18:19], v[22:23], -v[12:13]
	v_add_co_u32_e32 v12, vcc, s0, v56
	v_mul_f64 v[28:29], v[18:19], v[24:25]
	s_nop 0
	v_addc_co_u32_e32 v13, vcc, 0, v57, vcc
	v_fmac_f64_e32 v[28:29], v[20:21], v[22:23]
	global_load_dwordx4 v[22:25], v[12:13], off offset:3840
	ds_read_b128 v[18:21], v100 offset:12800
	ds_write_b128 v100, v[26:29] offset:6400
	s_mov_b32 s0, 0xc000
	s_waitcnt vmcnt(0) lgkmcnt(1)
	v_mul_f64 v[26:27], v[20:21], v[24:25]
	v_fma_f64 v[26:27], v[18:19], v[22:23], -v[26:27]
	v_mul_f64 v[28:29], v[18:19], v[24:25]
	v_add_co_u32_e32 v18, vcc, s0, v56
	v_fmac_f64_e32 v[28:29], v[20:21], v[22:23]
	s_nop 0
	v_addc_co_u32_e32 v19, vcc, 0, v57, vcc
	ds_write_b128 v100, v[26:29] offset:12800
	global_load_dwordx4 v[24:27], v[18:19], off offset:2048
	ds_read_b128 v[20:23], v100 offset:19200
	s_mov_b32 s0, 0xe000
	s_waitcnt vmcnt(0) lgkmcnt(0)
	v_mul_f64 v[28:29], v[22:23], v[26:27]
	v_fma_f64 v[28:29], v[20:21], v[24:25], -v[28:29]
	v_mul_f64 v[30:31], v[20:21], v[26:27]
	v_add_co_u32_e32 v20, vcc, s0, v56
	v_fmac_f64_e32 v[30:31], v[22:23], v[24:25]
	s_nop 0
	v_addc_co_u32_e32 v21, vcc, 0, v57, vcc
	ds_write_b128 v100, v[28:31] offset:19200
	global_load_dwordx4 v[26:29], v[20:21], off offset:256
	ds_read_b128 v[22:25], v100 offset:25600
	s_mov_b32 s0, 0xb000
	s_waitcnt vmcnt(0) lgkmcnt(0)
	v_mul_f64 v[30:31], v[24:25], v[28:29]
	v_mul_f64 v[32:33], v[22:23], v[28:29]
	v_fma_f64 v[30:31], v[22:23], v[26:27], -v[30:31]
	v_fmac_f64_e32 v[32:33], v[24:25], v[26:27]
	global_load_dwordx4 v[26:29], v[16:17], off offset:2000
	ds_read_b128 v[22:25], v100 offset:2000
	ds_write_b128 v100, v[30:33] offset:25600
	s_waitcnt vmcnt(0) lgkmcnt(1)
	v_mul_f64 v[30:31], v[24:25], v[28:29]
	v_mul_f64 v[32:33], v[22:23], v[28:29]
	v_fma_f64 v[30:31], v[22:23], v[26:27], -v[30:31]
	v_fmac_f64_e32 v[32:33], v[24:25], v[26:27]
	global_load_dwordx4 v[26:29], v[14:15], off offset:3536
	ds_read_b128 v[22:25], v100 offset:8400
	ds_write_b128 v100, v[30:33] offset:2000
	s_waitcnt vmcnt(0) lgkmcnt(1)
	v_mul_f64 v[14:15], v[24:25], v[28:29]
	v_fma_f64 v[30:31], v[22:23], v[26:27], -v[14:15]
	v_add_co_u32_e32 v14, vcc, s0, v56
	v_mul_f64 v[32:33], v[22:23], v[28:29]
	s_nop 0
	v_addc_co_u32_e32 v15, vcc, 0, v57, vcc
	v_fmac_f64_e32 v[32:33], v[24:25], v[26:27]
	global_load_dwordx4 v[26:29], v[14:15], off offset:1744
	ds_read_b128 v[22:25], v100 offset:14800
	ds_write_b128 v100, v[30:33] offset:8400
	s_mov_b32 s0, 0xd000
	s_waitcnt vmcnt(0) lgkmcnt(1)
	v_mul_f64 v[30:31], v[24:25], v[28:29]
	v_mul_f64 v[32:33], v[22:23], v[28:29]
	v_fma_f64 v[30:31], v[22:23], v[26:27], -v[30:31]
	v_fmac_f64_e32 v[32:33], v[24:25], v[26:27]
	global_load_dwordx4 v[26:29], v[18:19], off offset:4048
	ds_read_b128 v[22:25], v100 offset:21200
	ds_write_b128 v100, v[30:33] offset:14800
	s_waitcnt vmcnt(0) lgkmcnt(1)
	v_mul_f64 v[18:19], v[24:25], v[28:29]
	v_fma_f64 v[30:31], v[22:23], v[26:27], -v[18:19]
	global_load_dwordx4 v[18:21], v[20:21], off offset:2256
	v_mul_f64 v[32:33], v[22:23], v[28:29]
	v_fmac_f64_e32 v[32:33], v[24:25], v[26:27]
	ds_read_b128 v[22:25], v100 offset:27600
	ds_write_b128 v100, v[30:33] offset:21200
	s_waitcnt vmcnt(0) lgkmcnt(1)
	v_mul_f64 v[26:27], v[24:25], v[20:21]
	v_mul_f64 v[28:29], v[22:23], v[20:21]
	v_fma_f64 v[26:27], v[22:23], v[18:19], -v[26:27]
	v_fmac_f64_e32 v[28:29], v[24:25], v[18:19]
	global_load_dwordx4 v[22:25], v[16:17], off offset:4000
	ds_read_b128 v[18:21], v100 offset:4000
	ds_write_b128 v100, v[26:29] offset:27600
	s_waitcnt vmcnt(0) lgkmcnt(1)
	v_mul_f64 v[26:27], v[20:21], v[24:25]
	v_mul_f64 v[28:29], v[18:19], v[24:25]
	v_fma_f64 v[26:27], v[18:19], v[22:23], -v[26:27]
	v_fmac_f64_e32 v[28:29], v[20:21], v[22:23]
	global_load_dwordx4 v[22:25], v[12:13], off offset:1440
	ds_read_b128 v[18:21], v100 offset:10400
	ds_write_b128 v100, v[26:29] offset:4000
	s_waitcnt vmcnt(0) lgkmcnt(1)
	v_mul_f64 v[12:13], v[20:21], v[24:25]
	v_fma_f64 v[26:27], v[18:19], v[22:23], -v[12:13]
	global_load_dwordx4 v[12:15], v[14:15], off offset:3744
	v_mul_f64 v[28:29], v[18:19], v[24:25]
	v_fmac_f64_e32 v[28:29], v[20:21], v[22:23]
	ds_read_b128 v[18:21], v100 offset:16800
	ds_write_b128 v100, v[26:29] offset:10400
	s_waitcnt vmcnt(0) lgkmcnt(1)
	v_mul_f64 v[22:23], v[20:21], v[14:15]
	v_fma_f64 v[22:23], v[18:19], v[12:13], -v[22:23]
	v_mul_f64 v[24:25], v[18:19], v[14:15]
	v_add_co_u32_e32 v18, vcc, s0, v56
	v_fmac_f64_e32 v[24:25], v[20:21], v[12:13]
	s_nop 0
	v_addc_co_u32_e32 v19, vcc, 0, v57, vcc
	global_load_dwordx4 v[18:21], v[18:19], off offset:1952
	ds_read_b128 v[12:15], v100 offset:23200
	ds_write_b128 v100, v[22:25] offset:16800
	s_mov_b32 s0, 0xf000
	s_waitcnt vmcnt(0) lgkmcnt(1)
	v_mul_f64 v[22:23], v[14:15], v[20:21]
	v_mul_f64 v[24:25], v[12:13], v[20:21]
	v_fma_f64 v[22:23], v[12:13], v[18:19], -v[22:23]
	v_fmac_f64_e32 v[24:25], v[14:15], v[18:19]
	v_add_co_u32_e32 v18, vcc, s0, v56
	ds_read_b128 v[12:15], v100 offset:29600
	s_nop 0
	v_addc_co_u32_e32 v19, vcc, 0, v57, vcc
	global_load_dwordx4 v[18:21], v[18:19], off offset:160
	ds_write_b128 v100, v[22:25] offset:23200
	s_waitcnt vmcnt(0) lgkmcnt(1)
	v_mul_f64 v[22:23], v[14:15], v[20:21]
	v_mul_f64 v[24:25], v[12:13], v[20:21]
	v_fma_f64 v[22:23], v[12:13], v[18:19], -v[22:23]
	v_fmac_f64_e32 v[24:25], v[14:15], v[18:19]
	ds_write_b128 v100, v[22:25] offset:29600
	s_and_saveexec_b64 s[0:1], s[2:3]
	s_cbranch_execz .LBB0_17
; %bb.16:
	v_add_co_u32_e32 v18, vcc, 0x1000, v16
	ds_read_b128 v[12:15], v100 offset:6000
	s_nop 0
	v_addc_co_u32_e32 v19, vcc, 0, v17, vcc
	global_load_dwordx4 v[18:21], v[18:19], off offset:1904
	s_movk_i32 s11, 0x3000
	s_waitcnt vmcnt(0) lgkmcnt(0)
	v_mul_f64 v[22:23], v[14:15], v[20:21]
	v_mul_f64 v[24:25], v[12:13], v[20:21]
	v_fma_f64 v[22:23], v[12:13], v[18:19], -v[22:23]
	v_fmac_f64_e32 v[24:25], v[14:15], v[18:19]
	v_add_co_u32_e32 v18, vcc, s11, v16
	ds_read_b128 v[12:15], v100 offset:12400
	s_nop 0
	v_addc_co_u32_e32 v19, vcc, 0, v17, vcc
	global_load_dwordx4 v[18:21], v[18:19], off offset:112
	ds_write_b128 v100, v[22:25] offset:6000
	s_movk_i32 s11, 0x4000
	s_waitcnt vmcnt(0) lgkmcnt(1)
	v_mul_f64 v[22:23], v[14:15], v[20:21]
	v_mul_f64 v[24:25], v[12:13], v[20:21]
	v_fma_f64 v[22:23], v[12:13], v[18:19], -v[22:23]
	v_fmac_f64_e32 v[24:25], v[14:15], v[18:19]
	v_add_co_u32_e32 v18, vcc, s11, v16
	ds_read_b128 v[12:15], v100 offset:18800
	s_nop 0
	v_addc_co_u32_e32 v19, vcc, 0, v17, vcc
	global_load_dwordx4 v[18:21], v[18:19], off offset:2416
	ds_write_b128 v100, v[22:25] offset:12400
	s_movk_i32 s11, 0x6000
	s_waitcnt vmcnt(0) lgkmcnt(1)
	v_mul_f64 v[22:23], v[14:15], v[20:21]
	v_mul_f64 v[24:25], v[12:13], v[20:21]
	v_fma_f64 v[22:23], v[12:13], v[18:19], -v[22:23]
	v_fmac_f64_e32 v[24:25], v[14:15], v[18:19]
	v_add_co_u32_e32 v18, vcc, s11, v16
	ds_read_b128 v[12:15], v100 offset:25200
	s_nop 0
	v_addc_co_u32_e32 v19, vcc, 0, v17, vcc
	global_load_dwordx4 v[18:21], v[18:19], off offset:624
	v_add_co_u32_e32 v16, vcc, s10, v16
	ds_write_b128 v100, v[22:25] offset:18800
	s_nop 0
	v_addc_co_u32_e32 v17, vcc, 0, v17, vcc
	s_waitcnt vmcnt(0) lgkmcnt(1)
	v_mul_f64 v[22:23], v[14:15], v[20:21]
	v_mul_f64 v[24:25], v[12:13], v[20:21]
	v_fma_f64 v[22:23], v[12:13], v[18:19], -v[22:23]
	v_fmac_f64_e32 v[24:25], v[14:15], v[18:19]
	global_load_dwordx4 v[16:19], v[16:17], off offset:2928
	ds_read_b128 v[12:15], v100 offset:31600
	ds_write_b128 v100, v[22:25] offset:25200
	s_waitcnt vmcnt(0) lgkmcnt(1)
	v_mul_f64 v[20:21], v[14:15], v[18:19]
	v_mul_f64 v[22:23], v[12:13], v[18:19]
	v_fma_f64 v[20:21], v[12:13], v[16:17], -v[20:21]
	v_fmac_f64_e32 v[22:23], v[14:15], v[16:17]
	ds_write_b128 v100, v[20:23] offset:31600
.LBB0_17:
	s_or_b64 exec, exec, s[0:1]
	s_waitcnt lgkmcnt(0)
	s_barrier
	ds_read_b128 v[24:27], v100
	ds_read_b128 v[20:23], v100 offset:2000
	ds_read_b128 v[136:139], v100 offset:12800
	;; [unrolled: 1-line block ×14, first 2 shown]
	s_and_saveexec_b64 s[0:1], s[2:3]
	s_cbranch_execz .LBB0_19
; %bb.18:
	ds_read_b128 v[8:11], v100 offset:6000
	ds_read_b128 v[248:251], v100 offset:12400
	;; [unrolled: 1-line block ×5, first 2 shown]
.LBB0_19:
	s_or_b64 exec, exec, s[0:1]
	s_waitcnt lgkmcnt(8)
	v_add_f64 v[56:57], v[24:25], v[64:65]
	v_add_f64 v[56:57], v[56:57], v[136:137]
	s_waitcnt lgkmcnt(4)
	v_add_f64 v[56:57], v[56:57], v[68:69]
	v_add_f64 v[124:125], v[56:57], v[60:61]
	;; [unrolled: 1-line block ×3, first 2 shown]
	s_mov_b32 s10, 0x134454ff
	v_fma_f64 v[56:57], -0.5, v[56:57], v[24:25]
	v_add_f64 v[58:59], v[66:67], -v[62:63]
	s_mov_b32 s11, 0xbfee6f0e
	s_mov_b32 s0, 0x4755a5e
	;; [unrolled: 1-line block ×4, first 2 shown]
	v_fma_f64 v[128:129], s[10:11], v[58:59], v[56:57]
	v_add_f64 v[76:77], v[138:139], -v[70:71]
	s_mov_b32 s1, 0xbfe2cf23
	v_add_f64 v[78:79], v[64:65], -v[136:137]
	v_add_f64 v[126:127], v[60:61], -v[68:69]
	s_mov_b32 s12, 0x372fe950
	v_fmac_f64_e32 v[56:57], s[14:15], v[58:59]
	s_mov_b32 s17, 0x3fe2cf23
	s_mov_b32 s16, s0
	v_fmac_f64_e32 v[128:129], s[0:1], v[76:77]
	v_add_f64 v[78:79], v[78:79], v[126:127]
	s_mov_b32 s13, 0x3fd3c6ef
	v_fmac_f64_e32 v[56:57], s[16:17], v[76:77]
	v_fmac_f64_e32 v[128:129], s[12:13], v[78:79]
	;; [unrolled: 1-line block ×3, first 2 shown]
	v_add_f64 v[78:79], v[64:65], v[60:61]
	v_fmac_f64_e32 v[24:25], -0.5, v[78:79]
	v_fma_f64 v[132:133], s[14:15], v[76:77], v[24:25]
	v_fmac_f64_e32 v[24:25], s[10:11], v[76:77]
	v_fmac_f64_e32 v[132:133], s[0:1], v[58:59]
	v_fmac_f64_e32 v[24:25], s[16:17], v[58:59]
	v_add_f64 v[58:59], v[26:27], v[66:67]
	v_add_f64 v[58:59], v[58:59], v[138:139]
	v_add_f64 v[78:79], v[136:137], -v[64:65]
	v_add_f64 v[126:127], v[68:69], -v[60:61]
	v_add_f64 v[58:59], v[58:59], v[70:71]
	v_add_f64 v[78:79], v[78:79], v[126:127]
	;; [unrolled: 1-line block ×4, first 2 shown]
	v_fma_f64 v[58:59], -0.5, v[58:59], v[26:27]
	v_add_f64 v[60:61], v[64:65], -v[60:61]
	v_fma_f64 v[130:131], s[14:15], v[60:61], v[58:59]
	v_add_f64 v[64:65], v[136:137], -v[68:69]
	v_add_f64 v[68:69], v[66:67], -v[138:139]
	;; [unrolled: 1-line block ×3, first 2 shown]
	v_fmac_f64_e32 v[58:59], s[10:11], v[60:61]
	v_fmac_f64_e32 v[130:131], s[16:17], v[64:65]
	v_add_f64 v[68:69], v[68:69], v[76:77]
	v_fmac_f64_e32 v[58:59], s[0:1], v[64:65]
	v_fmac_f64_e32 v[130:131], s[12:13], v[68:69]
	;; [unrolled: 1-line block ×3, first 2 shown]
	v_add_f64 v[68:69], v[66:67], v[62:63]
	v_fmac_f64_e32 v[26:27], -0.5, v[68:69]
	v_fma_f64 v[134:135], s[10:11], v[64:65], v[26:27]
	v_fmac_f64_e32 v[26:27], s[14:15], v[64:65]
	v_fmac_f64_e32 v[134:135], s[16:17], v[60:61]
	;; [unrolled: 1-line block ×3, first 2 shown]
	v_add_f64 v[60:61], v[20:21], v[48:49]
	v_add_f64 v[60:61], v[60:61], v[40:41]
	v_add_f64 v[66:67], v[138:139], -v[66:67]
	v_add_f64 v[62:63], v[70:71], -v[62:63]
	s_waitcnt lgkmcnt(2)
	v_add_f64 v[60:61], v[60:61], v[52:53]
	v_add_f64 v[62:63], v[66:67], v[62:63]
	;; [unrolled: 1-line block ×4, first 2 shown]
	v_fmac_f64_e32 v[134:135], s[12:13], v[62:63]
	v_fmac_f64_e32 v[26:27], s[12:13], v[62:63]
	v_fma_f64 v[60:61], -0.5, v[60:61], v[20:21]
	v_add_f64 v[62:63], v[50:51], -v[46:47]
	v_fma_f64 v[68:69], s[10:11], v[62:63], v[60:61]
	v_add_f64 v[66:67], v[42:43], -v[54:55]
	v_add_f64 v[70:71], v[48:49], -v[40:41]
	;; [unrolled: 1-line block ×3, first 2 shown]
	v_fmac_f64_e32 v[60:61], s[14:15], v[62:63]
	v_fmac_f64_e32 v[68:69], s[0:1], v[66:67]
	v_add_f64 v[70:71], v[70:71], v[76:77]
	v_fmac_f64_e32 v[60:61], s[16:17], v[66:67]
	v_fmac_f64_e32 v[68:69], s[12:13], v[70:71]
	;; [unrolled: 1-line block ×3, first 2 shown]
	v_add_f64 v[70:71], v[48:49], v[44:45]
	v_fmac_f64_e32 v[20:21], -0.5, v[70:71]
	v_fma_f64 v[136:137], s[14:15], v[66:67], v[20:21]
	v_fmac_f64_e32 v[20:21], s[10:11], v[66:67]
	v_fmac_f64_e32 v[136:137], s[0:1], v[62:63]
	;; [unrolled: 1-line block ×3, first 2 shown]
	v_add_f64 v[62:63], v[22:23], v[50:51]
	v_add_f64 v[62:63], v[62:63], v[42:43]
	;; [unrolled: 1-line block ×3, first 2 shown]
	v_add_f64 v[70:71], v[40:41], -v[48:49]
	v_add_f64 v[76:77], v[52:53], -v[44:45]
	v_add_f64 v[66:67], v[62:63], v[46:47]
	v_add_f64 v[62:63], v[42:43], v[54:55]
	;; [unrolled: 1-line block ×3, first 2 shown]
	v_fma_f64 v[62:63], -0.5, v[62:63], v[22:23]
	v_add_f64 v[44:45], v[48:49], -v[44:45]
	v_fmac_f64_e32 v[136:137], s[12:13], v[70:71]
	v_fmac_f64_e32 v[20:21], s[12:13], v[70:71]
	v_fma_f64 v[70:71], s[14:15], v[44:45], v[62:63]
	v_add_f64 v[40:41], v[40:41], -v[52:53]
	v_add_f64 v[48:49], v[50:51], -v[42:43]
	;; [unrolled: 1-line block ×3, first 2 shown]
	v_fmac_f64_e32 v[62:63], s[10:11], v[44:45]
	v_fmac_f64_e32 v[70:71], s[16:17], v[40:41]
	v_add_f64 v[48:49], v[48:49], v[52:53]
	v_fmac_f64_e32 v[62:63], s[0:1], v[40:41]
	v_fmac_f64_e32 v[70:71], s[12:13], v[48:49]
	;; [unrolled: 1-line block ×3, first 2 shown]
	v_add_f64 v[48:49], v[50:51], v[46:47]
	v_fmac_f64_e32 v[22:23], -0.5, v[48:49]
	v_fma_f64 v[138:139], s[10:11], v[40:41], v[22:23]
	v_add_f64 v[42:43], v[42:43], -v[50:51]
	v_add_f64 v[46:47], v[54:55], -v[46:47]
	v_fmac_f64_e32 v[22:23], s[14:15], v[40:41]
	v_fmac_f64_e32 v[138:139], s[16:17], v[44:45]
	v_add_f64 v[42:43], v[42:43], v[46:47]
	v_fmac_f64_e32 v[22:23], s[0:1], v[44:45]
	v_fmac_f64_e32 v[138:139], s[12:13], v[42:43]
	;; [unrolled: 1-line block ×3, first 2 shown]
	s_waitcnt lgkmcnt(1)
	v_add_f64 v[42:43], v[28:29], v[32:33]
	v_fma_f64 v[44:45], -0.5, v[42:43], v[16:17]
	s_waitcnt lgkmcnt(0)
	v_add_f64 v[42:43], v[14:15], -v[38:39]
	v_fma_f64 v[48:49], s[10:11], v[42:43], v[44:45]
	v_add_f64 v[46:47], v[30:31], -v[34:35]
	v_add_f64 v[50:51], v[12:13], -v[28:29]
	;; [unrolled: 1-line block ×3, first 2 shown]
	v_fmac_f64_e32 v[44:45], s[14:15], v[42:43]
	v_fmac_f64_e32 v[48:49], s[0:1], v[46:47]
	v_add_f64 v[50:51], v[50:51], v[52:53]
	v_fmac_f64_e32 v[44:45], s[16:17], v[46:47]
	v_fmac_f64_e32 v[48:49], s[12:13], v[50:51]
	;; [unrolled: 1-line block ×3, first 2 shown]
	v_add_f64 v[50:51], v[12:13], v[36:37]
	v_add_f64 v[40:41], v[16:17], v[12:13]
	v_fmac_f64_e32 v[16:17], -0.5, v[50:51]
	v_add_f64 v[40:41], v[40:41], v[28:29]
	v_fma_f64 v[52:53], s[14:15], v[46:47], v[16:17]
	v_add_f64 v[50:51], v[28:29], -v[12:13]
	v_add_f64 v[54:55], v[32:33], -v[36:37]
	v_fmac_f64_e32 v[16:17], s[10:11], v[46:47]
	v_add_f64 v[46:47], v[30:31], v[34:35]
	v_add_f64 v[40:41], v[40:41], v[32:33]
	v_fmac_f64_e32 v[52:53], s[0:1], v[42:43]
	v_add_f64 v[50:51], v[50:51], v[54:55]
	v_fmac_f64_e32 v[16:17], s[16:17], v[42:43]
	v_fma_f64 v[46:47], -0.5, v[46:47], v[18:19]
	v_add_f64 v[12:13], v[12:13], -v[36:37]
	v_add_f64 v[40:41], v[40:41], v[36:37]
	v_fmac_f64_e32 v[52:53], s[12:13], v[50:51]
	v_fmac_f64_e32 v[16:17], s[12:13], v[50:51]
	v_fma_f64 v[50:51], s[14:15], v[12:13], v[46:47]
	v_add_f64 v[28:29], v[28:29], -v[32:33]
	v_add_f64 v[32:33], v[14:15], -v[30:31]
	;; [unrolled: 1-line block ×3, first 2 shown]
	v_fmac_f64_e32 v[46:47], s[10:11], v[12:13]
	v_fmac_f64_e32 v[50:51], s[16:17], v[28:29]
	v_add_f64 v[32:33], v[32:33], v[36:37]
	v_fmac_f64_e32 v[46:47], s[0:1], v[28:29]
	v_fmac_f64_e32 v[50:51], s[12:13], v[32:33]
	;; [unrolled: 1-line block ×3, first 2 shown]
	v_add_f64 v[32:33], v[14:15], v[38:39]
	v_add_f64 v[42:43], v[18:19], v[14:15]
	v_fmac_f64_e32 v[18:19], -0.5, v[32:33]
	v_add_f64 v[42:43], v[42:43], v[30:31]
	v_fma_f64 v[54:55], s[10:11], v[28:29], v[18:19]
	v_add_f64 v[14:15], v[30:31], -v[14:15]
	v_add_f64 v[30:31], v[34:35], -v[38:39]
	v_fmac_f64_e32 v[18:19], s[14:15], v[28:29]
	v_fmac_f64_e32 v[54:55], s[16:17], v[12:13]
	v_add_f64 v[14:15], v[14:15], v[30:31]
	v_fmac_f64_e32 v[18:19], s[0:1], v[12:13]
	v_fmac_f64_e32 v[54:55], s[12:13], v[14:15]
	;; [unrolled: 1-line block ×3, first 2 shown]
	v_add_f64 v[14:15], v[252:253], v[4:5]
	v_fma_f64 v[32:33], -0.5, v[14:15], v[8:9]
	v_add_f64 v[14:15], v[250:251], -v[2:3]
	v_add_f64 v[42:43], v[42:43], v[34:35]
	v_fma_f64 v[28:29], s[10:11], v[14:15], v[32:33]
	v_add_f64 v[30:31], v[254:255], -v[6:7]
	v_add_f64 v[34:35], v[248:249], -v[252:253]
	;; [unrolled: 1-line block ×3, first 2 shown]
	v_fmac_f64_e32 v[32:33], s[14:15], v[14:15]
	v_fmac_f64_e32 v[28:29], s[0:1], v[30:31]
	v_add_f64 v[34:35], v[34:35], v[36:37]
	v_fmac_f64_e32 v[32:33], s[16:17], v[30:31]
	v_fmac_f64_e32 v[28:29], s[12:13], v[34:35]
	;; [unrolled: 1-line block ×3, first 2 shown]
	v_add_f64 v[34:35], v[248:249], v[0:1]
	v_add_f64 v[12:13], v[8:9], v[248:249]
	v_fmac_f64_e32 v[8:9], -0.5, v[34:35]
	v_add_f64 v[42:43], v[42:43], v[38:39]
	v_add_f64 v[12:13], v[12:13], v[252:253]
	v_fma_f64 v[36:37], s[14:15], v[30:31], v[8:9]
	v_add_f64 v[34:35], v[252:253], -v[248:249]
	v_add_f64 v[38:39], v[4:5], -v[0:1]
	v_fmac_f64_e32 v[8:9], s[10:11], v[30:31]
	v_add_f64 v[12:13], v[12:13], v[4:5]
	v_fmac_f64_e32 v[36:37], s[0:1], v[14:15]
	v_add_f64 v[34:35], v[34:35], v[38:39]
	;; [unrolled: 2-line block ×3, first 2 shown]
	v_add_f64 v[12:13], v[12:13], v[0:1]
	v_fmac_f64_e32 v[36:37], s[12:13], v[34:35]
	v_fmac_f64_e32 v[8:9], s[12:13], v[34:35]
	v_fma_f64 v[34:35], -0.5, v[30:31], v[10:11]
	v_add_f64 v[0:1], v[248:249], -v[0:1]
	v_fma_f64 v[30:31], s[14:15], v[0:1], v[34:35]
	v_add_f64 v[4:5], v[252:253], -v[4:5]
	v_add_f64 v[38:39], v[250:251], -v[254:255]
	;; [unrolled: 1-line block ×3, first 2 shown]
	v_fmac_f64_e32 v[34:35], s[10:11], v[0:1]
	v_fmac_f64_e32 v[30:31], s[16:17], v[4:5]
	v_add_f64 v[38:39], v[38:39], v[76:77]
	v_fmac_f64_e32 v[34:35], s[0:1], v[4:5]
	v_add_f64 v[14:15], v[10:11], v[250:251]
	v_fmac_f64_e32 v[30:31], s[12:13], v[38:39]
	v_fmac_f64_e32 v[34:35], s[12:13], v[38:39]
	v_add_f64 v[38:39], v[250:251], v[2:3]
	v_add_f64 v[14:15], v[14:15], v[254:255]
	v_fmac_f64_e32 v[10:11], -0.5, v[38:39]
	v_add_f64 v[14:15], v[14:15], v[6:7]
	v_fma_f64 v[38:39], s[10:11], v[4:5], v[10:11]
	v_fmac_f64_e32 v[10:11], s[14:15], v[4:5]
	v_add_f64 v[14:15], v[14:15], v[2:3]
	v_fmac_f64_e32 v[38:39], s[16:17], v[0:1]
	v_add_f64 v[76:77], v[254:255], -v[250:251]
	v_add_f64 v[2:3], v[6:7], -v[2:3]
	v_fmac_f64_e32 v[10:11], s[0:1], v[0:1]
	v_accvgpr_read_b32 v0, a9
	v_fmac_f64_e32 v[132:133], s[12:13], v[78:79]
	v_fmac_f64_e32 v[24:25], s[12:13], v[78:79]
	v_add_f64 v[2:3], v[76:77], v[2:3]
	s_barrier
	ds_write_b128 v0, v[124:127]
	ds_write_b128 v0, v[128:131] offset:16
	ds_write_b128 v0, v[132:135] offset:32
	;; [unrolled: 1-line block ×4, first 2 shown]
	v_accvgpr_read_b32 v0, a59
	v_fmac_f64_e32 v[38:39], s[12:13], v[2:3]
	v_fmac_f64_e32 v[10:11], s[12:13], v[2:3]
	ds_write_b128 v0, v[64:67]
	ds_write_b128 v0, v[68:71] offset:16
	ds_write_b128 v0, v[136:139] offset:32
	;; [unrolled: 1-line block ×4, first 2 shown]
	v_accvgpr_read_b32 v0, a64
	ds_write_b128 v0, v[40:43]
	ds_write_b128 v0, v[48:51] offset:16
	ds_write_b128 v0, v[52:55] offset:32
	;; [unrolled: 1-line block ×4, first 2 shown]
	s_and_saveexec_b64 s[0:1], s[2:3]
	s_cbranch_execz .LBB0_21
; %bb.20:
	v_accvgpr_read_b32 v0, a65
	v_lshlrev_b32_e32 v0, 4, v0
	ds_write_b128 v0, v[12:15]
	ds_write_b128 v0, v[28:31] offset:16
	ds_write_b128 v0, v[36:39] offset:32
	;; [unrolled: 1-line block ×4, first 2 shown]
.LBB0_21:
	s_or_b64 exec, exec, s[0:1]
	s_waitcnt lgkmcnt(0)
	s_barrier
	ds_read_b128 v[248:251], v100
	ds_read_b128 v[20:23], v100 offset:2000
	ds_read_b128 v[64:67], v100 offset:12800
	;; [unrolled: 1-line block ×14, first 2 shown]
	s_and_saveexec_b64 s[0:1], s[2:3]
	s_cbranch_execz .LBB0_23
; %bb.22:
	ds_read_b128 v[12:15], v100 offset:6000
	ds_read_b128 v[28:31], v100 offset:12400
	;; [unrolled: 1-line block ×5, first 2 shown]
.LBB0_23:
	s_or_b64 exec, exec, s[0:1]
	v_accvgpr_read_b32 v133, a81
	v_accvgpr_read_b32 v132, a80
	;; [unrolled: 1-line block ×4, first 2 shown]
	s_waitcnt lgkmcnt(8)
	v_mul_f64 v[128:129], v[132:133], v[126:127]
	v_mul_f64 v[76:77], v[132:133], v[124:125]
	v_fmac_f64_e32 v[128:129], v[130:131], v[124:125]
	v_fma_f64 v[124:125], v[130:131], v[126:127], -v[76:77]
	v_accvgpr_read_b32 v79, a77
	v_accvgpr_read_b32 v78, a76
	;; [unrolled: 1-line block ×4, first 2 shown]
	v_mul_f64 v[126:127], v[78:79], v[66:67]
	v_fmac_f64_e32 v[126:127], v[76:77], v[64:65]
	v_mul_f64 v[64:65], v[78:79], v[64:65]
	v_fma_f64 v[130:131], v[76:77], v[66:67], -v[64:65]
	v_accvgpr_read_b32 v79, a73
	v_accvgpr_read_b32 v78, a72
	;; [unrolled: 1-line block ×4, first 2 shown]
	s_waitcnt lgkmcnt(4)
	v_mul_f64 v[64:65], v[78:79], v[68:69]
	v_fma_f64 v[134:135], v[76:77], v[70:71], -v[64:65]
	v_accvgpr_read_b32 v64, a66
	v_accvgpr_read_b32 v66, a68
	;; [unrolled: 1-line block ×4, first 2 shown]
	v_mul_f64 v[136:137], v[66:67], v[58:59]
	v_fmac_f64_e32 v[136:137], v[64:65], v[56:57]
	v_mul_f64 v[56:57], v[66:67], v[56:57]
	v_fma_f64 v[138:139], v[64:65], v[58:59], -v[56:57]
	v_mul_f64 v[252:253], v[90:91], v[62:63]
	v_mul_f64 v[56:57], v[90:91], v[60:61]
	;; [unrolled: 1-line block ×3, first 2 shown]
	v_fmac_f64_e32 v[90:91], v[84:85], v[48:49]
	v_mul_f64 v[48:49], v[86:87], v[48:49]
	v_fma_f64 v[84:85], v[84:85], v[50:51], -v[48:49]
	s_waitcnt lgkmcnt(2)
	v_mul_f64 v[86:87], v[82:83], v[54:55]
	v_mul_f64 v[48:49], v[82:83], v[52:53]
	v_fmac_f64_e32 v[86:87], v[80:81], v[52:53]
	v_fma_f64 v[82:83], v[80:81], v[54:55], -v[48:49]
	s_waitcnt lgkmcnt(0)
	v_mul_f64 v[80:81], v[94:95], v[2:3]
	v_fmac_f64_e32 v[80:81], v[92:93], v[0:1]
	v_mul_f64 v[0:1], v[94:95], v[0:1]
	v_fma_f64 v[0:1], v[92:93], v[2:3], -v[0:1]
	v_mul_f64 v[2:3], v[122:123], v[28:29]
	v_fmac_f64_e32 v[252:253], v[88:89], v[60:61]
	v_fma_f64 v[88:89], v[88:89], v[62:63], -v[56:57]
	v_fma_f64 v[56:57], v[120:121], v[30:31], -v[2:3]
	v_mul_f64 v[2:3], v[118:119], v[36:37]
	v_fma_f64 v[58:59], v[116:117], v[38:39], -v[2:3]
	v_mul_f64 v[2:3], v[114:115], v[8:9]
	v_mul_f64 v[132:133], v[78:79], v[70:71]
	;; [unrolled: 1-line block ×3, first 2 shown]
	v_fma_f64 v[64:65], v[112:113], v[10:11], -v[2:3]
	v_mul_f64 v[2:3], v[110:111], v[32:33]
	v_fmac_f64_e32 v[78:79], v[72:73], v[24:25]
	v_mul_f64 v[24:25], v[74:75], v[24:25]
	v_mul_f64 v[74:75], v[98:99], v[6:7]
	v_fma_f64 v[66:67], v[108:109], v[34:35], -v[2:3]
	v_add_f64 v[2:3], v[248:249], v[128:129]
	v_fmac_f64_e32 v[132:133], v[76:77], v[68:69]
	v_fmac_f64_e32 v[74:75], v[96:97], v[4:5]
	v_mul_f64 v[4:5], v[98:99], v[4:5]
	v_add_f64 v[2:3], v[2:3], v[126:127]
	v_fma_f64 v[4:5], v[96:97], v[6:7], -v[4:5]
	v_mul_f64 v[6:7], v[122:123], v[30:31]
	v_add_f64 v[2:3], v[2:3], v[132:133]
	v_fmac_f64_e32 v[6:7], v[120:121], v[28:29]
	v_add_f64 v[28:29], v[2:3], v[136:137]
	v_add_f64 v[2:3], v[126:127], v[132:133]
	v_fma_f64 v[72:73], v[72:73], v[26:27], -v[24:25]
	v_mul_f64 v[68:69], v[114:115], v[10:11]
	v_mul_f64 v[70:71], v[110:111], v[34:35]
	v_fma_f64 v[24:25], -0.5, v[2:3], v[248:249]
	v_add_f64 v[2:3], v[124:125], -v[138:139]
	s_mov_b32 s0, 0x4755a5e
	s_mov_b32 s14, s10
	v_fmac_f64_e32 v[68:69], v[112:113], v[8:9]
	v_fmac_f64_e32 v[70:71], v[108:109], v[32:33]
	v_fma_f64 v[32:33], s[10:11], v[2:3], v[24:25]
	v_add_f64 v[8:9], v[130:131], -v[134:135]
	s_mov_b32 s1, 0xbfe2cf23
	v_add_f64 v[10:11], v[128:129], -v[126:127]
	v_add_f64 v[26:27], v[136:137], -v[132:133]
	v_fmac_f64_e32 v[24:25], s[14:15], v[2:3]
	s_mov_b32 s16, s0
	v_fmac_f64_e32 v[32:33], s[0:1], v[8:9]
	v_add_f64 v[10:11], v[10:11], v[26:27]
	v_fmac_f64_e32 v[24:25], s[16:17], v[8:9]
	v_fmac_f64_e32 v[32:33], s[12:13], v[10:11]
	;; [unrolled: 1-line block ×3, first 2 shown]
	v_add_f64 v[10:11], v[128:129], v[136:137]
	v_mul_f64 v[62:63], v[118:119], v[38:39]
	v_fmac_f64_e32 v[248:249], -0.5, v[10:11]
	v_fmac_f64_e32 v[62:63], v[116:117], v[36:37]
	v_fma_f64 v[36:37], s[14:15], v[8:9], v[248:249]
	v_fmac_f64_e32 v[248:249], s[10:11], v[8:9]
	v_fmac_f64_e32 v[36:37], s[0:1], v[2:3]
	;; [unrolled: 1-line block ×3, first 2 shown]
	v_add_f64 v[2:3], v[250:251], v[124:125]
	v_add_f64 v[2:3], v[2:3], v[130:131]
	;; [unrolled: 1-line block ×3, first 2 shown]
	v_add_f64 v[10:11], v[126:127], -v[128:129]
	v_add_f64 v[26:27], v[132:133], -v[136:137]
	v_add_f64 v[30:31], v[2:3], v[138:139]
	v_add_f64 v[2:3], v[130:131], v[134:135]
	;; [unrolled: 1-line block ×3, first 2 shown]
	v_fma_f64 v[26:27], -0.5, v[2:3], v[250:251]
	v_add_f64 v[2:3], v[128:129], -v[136:137]
	v_fmac_f64_e32 v[36:37], s[12:13], v[10:11]
	v_fmac_f64_e32 v[248:249], s[12:13], v[10:11]
	v_fma_f64 v[34:35], s[14:15], v[2:3], v[26:27]
	v_add_f64 v[8:9], v[126:127], -v[132:133]
	v_add_f64 v[10:11], v[124:125], -v[130:131]
	;; [unrolled: 1-line block ×3, first 2 shown]
	v_fmac_f64_e32 v[26:27], s[10:11], v[2:3]
	v_fmac_f64_e32 v[34:35], s[16:17], v[8:9]
	v_add_f64 v[10:11], v[10:11], v[38:39]
	v_fmac_f64_e32 v[26:27], s[0:1], v[8:9]
	v_fmac_f64_e32 v[34:35], s[12:13], v[10:11]
	;; [unrolled: 1-line block ×3, first 2 shown]
	v_add_f64 v[10:11], v[124:125], v[138:139]
	v_fmac_f64_e32 v[250:251], -0.5, v[10:11]
	v_accvgpr_read_b32 v52, a82
	v_fma_f64 v[38:39], s[10:11], v[8:9], v[250:251]
	v_fmac_f64_e32 v[250:251], s[14:15], v[8:9]
	v_accvgpr_read_b32 v54, a84
	v_accvgpr_read_b32 v55, a85
	v_fmac_f64_e32 v[38:39], s[16:17], v[2:3]
	v_fmac_f64_e32 v[250:251], s[0:1], v[2:3]
	v_add_f64 v[2:3], v[20:21], v[252:253]
	v_accvgpr_read_b32 v53, a83
	v_mul_f64 v[50:51], v[54:55], v[46:47]
	v_mul_f64 v[76:77], v[106:107], v[42:43]
	v_add_f64 v[2:3], v[2:3], v[90:91]
	v_fmac_f64_e32 v[50:51], v[52:53], v[44:45]
	v_mul_f64 v[44:45], v[54:55], v[44:45]
	v_fmac_f64_e32 v[76:77], v[104:105], v[40:41]
	v_mul_f64 v[40:41], v[106:107], v[40:41]
	v_add_f64 v[2:3], v[2:3], v[86:87]
	v_fma_f64 v[254:255], v[52:53], v[46:47], -v[44:45]
	v_fma_f64 v[60:61], v[104:105], v[42:43], -v[40:41]
	v_add_f64 v[10:11], v[130:131], -v[124:125]
	v_add_f64 v[40:41], v[134:135], -v[138:139]
	v_add_f64 v[44:45], v[2:3], v[50:51]
	v_add_f64 v[2:3], v[90:91], v[86:87]
	;; [unrolled: 1-line block ×3, first 2 shown]
	v_fma_f64 v[40:41], -0.5, v[2:3], v[20:21]
	v_add_f64 v[2:3], v[88:89], -v[254:255]
	v_fmac_f64_e32 v[38:39], s[12:13], v[10:11]
	v_fmac_f64_e32 v[250:251], s[12:13], v[10:11]
	v_fma_f64 v[48:49], s[10:11], v[2:3], v[40:41]
	v_add_f64 v[8:9], v[84:85], -v[82:83]
	v_add_f64 v[10:11], v[252:253], -v[90:91]
	;; [unrolled: 1-line block ×3, first 2 shown]
	v_fmac_f64_e32 v[40:41], s[14:15], v[2:3]
	v_fmac_f64_e32 v[48:49], s[0:1], v[8:9]
	v_add_f64 v[10:11], v[10:11], v[42:43]
	v_fmac_f64_e32 v[40:41], s[16:17], v[8:9]
	v_fmac_f64_e32 v[48:49], s[12:13], v[10:11]
	;; [unrolled: 1-line block ×3, first 2 shown]
	v_add_f64 v[10:11], v[252:253], v[50:51]
	v_fmac_f64_e32 v[20:21], -0.5, v[10:11]
	v_fma_f64 v[52:53], s[14:15], v[8:9], v[20:21]
	v_fmac_f64_e32 v[20:21], s[10:11], v[8:9]
	v_fmac_f64_e32 v[52:53], s[0:1], v[2:3]
	;; [unrolled: 1-line block ×3, first 2 shown]
	v_add_f64 v[2:3], v[22:23], v[88:89]
	v_add_f64 v[2:3], v[2:3], v[84:85]
	;; [unrolled: 1-line block ×3, first 2 shown]
	v_add_f64 v[10:11], v[90:91], -v[252:253]
	v_add_f64 v[42:43], v[86:87], -v[50:51]
	v_add_f64 v[46:47], v[2:3], v[254:255]
	v_add_f64 v[2:3], v[84:85], v[82:83]
	;; [unrolled: 1-line block ×3, first 2 shown]
	v_fma_f64 v[42:43], -0.5, v[2:3], v[22:23]
	v_add_f64 v[2:3], v[252:253], -v[50:51]
	v_fmac_f64_e32 v[52:53], s[12:13], v[10:11]
	v_fmac_f64_e32 v[20:21], s[12:13], v[10:11]
	v_fma_f64 v[50:51], s[14:15], v[2:3], v[42:43]
	v_add_f64 v[8:9], v[90:91], -v[86:87]
	v_add_f64 v[10:11], v[88:89], -v[84:85]
	;; [unrolled: 1-line block ×3, first 2 shown]
	v_fmac_f64_e32 v[42:43], s[10:11], v[2:3]
	v_fmac_f64_e32 v[50:51], s[16:17], v[8:9]
	v_add_f64 v[10:11], v[10:11], v[54:55]
	v_fmac_f64_e32 v[42:43], s[0:1], v[8:9]
	v_fmac_f64_e32 v[50:51], s[12:13], v[10:11]
	;; [unrolled: 1-line block ×3, first 2 shown]
	v_add_f64 v[10:11], v[88:89], v[254:255]
	v_fmac_f64_e32 v[22:23], -0.5, v[10:11]
	v_fma_f64 v[54:55], s[10:11], v[8:9], v[22:23]
	v_fmac_f64_e32 v[22:23], s[14:15], v[8:9]
	v_fmac_f64_e32 v[54:55], s[16:17], v[2:3]
	;; [unrolled: 1-line block ×3, first 2 shown]
	v_add_f64 v[2:3], v[16:17], v[76:77]
	v_add_f64 v[2:3], v[2:3], v[78:79]
	v_add_f64 v[10:11], v[84:85], -v[88:89]
	v_add_f64 v[82:83], v[82:83], -v[254:255]
	v_add_f64 v[2:3], v[2:3], v[74:75]
	v_add_f64 v[10:11], v[10:11], v[82:83]
	;; [unrolled: 1-line block ×4, first 2 shown]
	v_fma_f64 v[86:87], -0.5, v[2:3], v[16:17]
	v_add_f64 v[2:3], v[60:61], -v[0:1]
	v_fmac_f64_e32 v[54:55], s[12:13], v[10:11]
	v_fmac_f64_e32 v[22:23], s[12:13], v[10:11]
	v_fma_f64 v[90:91], s[10:11], v[2:3], v[86:87]
	v_add_f64 v[8:9], v[72:73], -v[4:5]
	v_add_f64 v[10:11], v[76:77], -v[78:79]
	;; [unrolled: 1-line block ×3, first 2 shown]
	v_fmac_f64_e32 v[86:87], s[14:15], v[2:3]
	v_fmac_f64_e32 v[90:91], s[0:1], v[8:9]
	v_add_f64 v[10:11], v[10:11], v[84:85]
	v_fmac_f64_e32 v[86:87], s[16:17], v[8:9]
	v_fmac_f64_e32 v[90:91], s[12:13], v[10:11]
	v_fmac_f64_e32 v[86:87], s[12:13], v[10:11]
	v_add_f64 v[10:11], v[76:77], v[80:81]
	v_fmac_f64_e32 v[16:17], -0.5, v[10:11]
	v_fma_f64 v[94:95], s[14:15], v[8:9], v[16:17]
	v_fmac_f64_e32 v[16:17], s[10:11], v[8:9]
	v_fmac_f64_e32 v[94:95], s[0:1], v[2:3]
	v_fmac_f64_e32 v[16:17], s[16:17], v[2:3]
	v_add_f64 v[2:3], v[18:19], v[60:61]
	v_add_f64 v[2:3], v[2:3], v[72:73]
	v_add_f64 v[10:11], v[78:79], -v[76:77]
	v_add_f64 v[84:85], v[74:75], -v[80:81]
	v_add_f64 v[2:3], v[2:3], v[4:5]
	v_add_f64 v[10:11], v[10:11], v[84:85]
	;; [unrolled: 1-line block ×4, first 2 shown]
	v_fma_f64 v[88:89], -0.5, v[2:3], v[18:19]
	v_add_f64 v[2:3], v[76:77], -v[80:81]
	v_fmac_f64_e32 v[94:95], s[12:13], v[10:11]
	v_fmac_f64_e32 v[16:17], s[12:13], v[10:11]
	v_fma_f64 v[92:93], s[14:15], v[2:3], v[88:89]
	v_add_f64 v[8:9], v[78:79], -v[74:75]
	v_add_f64 v[10:11], v[60:61], -v[72:73]
	;; [unrolled: 1-line block ×3, first 2 shown]
	v_fmac_f64_e32 v[88:89], s[10:11], v[2:3]
	v_fmac_f64_e32 v[92:93], s[16:17], v[8:9]
	v_add_f64 v[10:11], v[10:11], v[74:75]
	v_fmac_f64_e32 v[88:89], s[0:1], v[8:9]
	v_fmac_f64_e32 v[92:93], s[12:13], v[10:11]
	;; [unrolled: 1-line block ×3, first 2 shown]
	v_add_f64 v[10:11], v[60:61], v[0:1]
	v_fmac_f64_e32 v[18:19], -0.5, v[10:11]
	v_fma_f64 v[96:97], s[10:11], v[8:9], v[18:19]
	v_fmac_f64_e32 v[18:19], s[14:15], v[8:9]
	v_fmac_f64_e32 v[96:97], s[16:17], v[2:3]
	;; [unrolled: 1-line block ×3, first 2 shown]
	v_add_f64 v[2:3], v[62:63], v[68:69]
	v_add_f64 v[10:11], v[72:73], -v[60:61]
	v_add_f64 v[0:1], v[4:5], -v[0:1]
	v_fma_f64 v[8:9], -0.5, v[2:3], v[12:13]
	v_add_f64 v[2:3], v[56:57], -v[66:67]
	v_add_f64 v[0:1], v[10:11], v[0:1]
	v_fma_f64 v[4:5], s[10:11], v[2:3], v[8:9]
	v_add_f64 v[10:11], v[58:59], -v[64:65]
	v_add_f64 v[60:61], v[6:7], -v[62:63]
	;; [unrolled: 1-line block ×3, first 2 shown]
	v_fmac_f64_e32 v[8:9], s[14:15], v[2:3]
	v_fmac_f64_e32 v[4:5], s[0:1], v[10:11]
	v_add_f64 v[60:61], v[60:61], v[72:73]
	v_fmac_f64_e32 v[8:9], s[16:17], v[10:11]
	v_fmac_f64_e32 v[96:97], s[12:13], v[0:1]
	;; [unrolled: 1-line block ×3, first 2 shown]
	v_add_f64 v[0:1], v[12:13], v[6:7]
	v_fmac_f64_e32 v[4:5], s[12:13], v[60:61]
	v_fmac_f64_e32 v[8:9], s[12:13], v[60:61]
	v_add_f64 v[60:61], v[6:7], v[70:71]
	v_add_f64 v[0:1], v[0:1], v[62:63]
	v_fmac_f64_e32 v[12:13], -0.5, v[60:61]
	v_add_f64 v[0:1], v[0:1], v[68:69]
	v_fma_f64 v[60:61], s[14:15], v[10:11], v[12:13]
	v_add_f64 v[72:73], v[62:63], -v[6:7]
	v_add_f64 v[74:75], v[68:69], -v[70:71]
	v_fmac_f64_e32 v[12:13], s[10:11], v[10:11]
	v_add_f64 v[10:11], v[58:59], v[64:65]
	v_add_f64 v[0:1], v[0:1], v[70:71]
	v_fmac_f64_e32 v[60:61], s[0:1], v[2:3]
	v_add_f64 v[72:73], v[72:73], v[74:75]
	v_fmac_f64_e32 v[12:13], s[16:17], v[2:3]
	v_fma_f64 v[10:11], -0.5, v[10:11], v[14:15]
	v_add_f64 v[70:71], v[6:7], -v[70:71]
	v_fmac_f64_e32 v[60:61], s[12:13], v[72:73]
	v_fmac_f64_e32 v[12:13], s[12:13], v[72:73]
	v_fma_f64 v[6:7], s[14:15], v[70:71], v[10:11]
	v_add_f64 v[68:69], v[62:63], -v[68:69]
	v_add_f64 v[62:63], v[56:57], -v[58:59]
	;; [unrolled: 1-line block ×3, first 2 shown]
	v_fmac_f64_e32 v[10:11], s[10:11], v[70:71]
	v_fmac_f64_e32 v[6:7], s[16:17], v[68:69]
	v_add_f64 v[62:63], v[62:63], v[72:73]
	v_fmac_f64_e32 v[10:11], s[0:1], v[68:69]
	v_fmac_f64_e32 v[6:7], s[12:13], v[62:63]
	;; [unrolled: 1-line block ×3, first 2 shown]
	v_add_f64 v[62:63], v[56:57], v[66:67]
	v_add_f64 v[2:3], v[14:15], v[56:57]
	v_fmac_f64_e32 v[14:15], -0.5, v[62:63]
	v_add_f64 v[2:3], v[2:3], v[58:59]
	v_fma_f64 v[62:63], s[10:11], v[68:69], v[14:15]
	v_add_f64 v[56:57], v[58:59], -v[56:57]
	v_add_f64 v[58:59], v[64:65], -v[66:67]
	v_fmac_f64_e32 v[14:15], s[14:15], v[68:69]
	v_fmac_f64_e32 v[62:63], s[16:17], v[70:71]
	v_add_f64 v[56:57], v[56:57], v[58:59]
	v_fmac_f64_e32 v[14:15], s[0:1], v[70:71]
	v_fmac_f64_e32 v[62:63], s[12:13], v[56:57]
	;; [unrolled: 1-line block ×3, first 2 shown]
	v_accvgpr_read_b32 v56, a94
	v_add_f64 v[2:3], v[2:3], v[64:65]
	s_barrier
	ds_write_b128 v56, v[28:31]
	ds_write_b128 v56, v[32:35] offset:80
	ds_write_b128 v56, v[36:39] offset:160
	;; [unrolled: 1-line block ×4, first 2 shown]
	v_accvgpr_read_b32 v24, a95
	v_add_f64 v[2:3], v[2:3], v[66:67]
	ds_write_b128 v24, v[44:47]
	ds_write_b128 v24, v[48:51] offset:80
	ds_write_b128 v24, v[52:55] offset:160
	;; [unrolled: 1-line block ×4, first 2 shown]
	v_accvgpr_read_b32 v20, a100
	ds_write_b128 v20, v[82:85]
	ds_write_b128 v20, v[90:93] offset:80
	ds_write_b128 v20, v[94:97] offset:160
	;; [unrolled: 1-line block ×4, first 2 shown]
	s_and_saveexec_b64 s[0:1], s[2:3]
	s_cbranch_execz .LBB0_25
; %bb.24:
	v_accvgpr_read_b32 v16, a101
	v_lshlrev_b32_e32 v16, 4, v16
	ds_write_b128 v16, v[0:3]
	ds_write_b128 v16, v[4:7] offset:80
	ds_write_b128 v16, v[60:63] offset:160
	;; [unrolled: 1-line block ×4, first 2 shown]
.LBB0_25:
	s_or_b64 exec, exec, s[0:1]
	s_waitcnt lgkmcnt(0)
	s_barrier
	ds_read_b128 v[24:27], v100
	ds_read_b128 v[20:23], v100 offset:2000
	ds_read_b128 v[68:71], v100 offset:12800
	;; [unrolled: 1-line block ×14, first 2 shown]
	s_and_saveexec_b64 s[0:1], s[2:3]
	s_cbranch_execz .LBB0_27
; %bb.26:
	ds_read_b128 v[0:3], v100 offset:6000
	ds_read_b128 v[4:7], v100 offset:12400
	;; [unrolled: 1-line block ×5, first 2 shown]
.LBB0_27:
	s_or_b64 exec, exec, s[0:1]
	s_waitcnt lgkmcnt(8)
	v_mul_f64 v[80:81], v[154:155], v[78:79]
	v_fmac_f64_e32 v[80:81], v[152:153], v[76:77]
	v_mul_f64 v[76:77], v[154:155], v[76:77]
	v_fma_f64 v[76:77], v[152:153], v[78:79], -v[76:77]
	v_mul_f64 v[78:79], v[150:151], v[70:71]
	v_fmac_f64_e32 v[78:79], v[148:149], v[68:69]
	v_mul_f64 v[68:69], v[150:151], v[68:69]
	v_fma_f64 v[68:69], v[148:149], v[70:71], -v[68:69]
	s_waitcnt lgkmcnt(4)
	v_mul_f64 v[70:71], v[146:147], v[74:75]
	v_fmac_f64_e32 v[70:71], v[144:145], v[72:73]
	v_mul_f64 v[72:73], v[146:147], v[72:73]
	v_fma_f64 v[72:73], v[144:145], v[74:75], -v[72:73]
	v_mul_f64 v[74:75], v[142:143], v[58:59]
	v_fmac_f64_e32 v[74:75], v[140:141], v[56:57]
	v_mul_f64 v[56:57], v[142:143], v[56:57]
	v_fma_f64 v[82:83], v[140:141], v[58:59], -v[56:57]
	v_mul_f64 v[88:89], v[166:167], v[50:51]
	s_waitcnt lgkmcnt(0)
	v_mul_f64 v[58:59], v[174:175], v[30:31]
	v_fmac_f64_e32 v[88:89], v[164:165], v[48:49]
	v_mul_f64 v[48:49], v[166:167], v[48:49]
	v_fmac_f64_e32 v[58:59], v[172:173], v[28:29]
	v_mul_f64 v[28:29], v[174:175], v[28:29]
	v_mul_f64 v[56:57], v[170:171], v[64:65]
	v_fma_f64 v[90:91], v[164:165], v[50:51], -v[48:49]
	v_fma_f64 v[50:51], v[172:173], v[30:31], -v[28:29]
	v_add_f64 v[28:29], v[24:25], v[80:81]
	v_fma_f64 v[86:87], v[168:169], v[66:67], -v[56:57]
	v_mul_f64 v[56:57], v[178:179], v[34:35]
	v_add_f64 v[28:29], v[28:29], v[78:79]
	v_mul_f64 v[92:93], v[162:163], v[54:55]
	v_mul_f64 v[48:49], v[162:163], v[52:53]
	v_fmac_f64_e32 v[56:57], v[176:177], v[32:33]
	v_mul_f64 v[32:33], v[178:179], v[32:33]
	v_add_f64 v[28:29], v[28:29], v[70:71]
	v_fmac_f64_e32 v[92:93], v[160:161], v[52:53]
	v_fma_f64 v[94:95], v[160:161], v[54:55], -v[48:49]
	v_mul_f64 v[96:97], v[158:159], v[46:47]
	v_mul_f64 v[52:53], v[186:187], v[42:43]
	;; [unrolled: 1-line block ×3, first 2 shown]
	v_fma_f64 v[48:49], v[176:177], v[34:35], -v[32:33]
	v_add_f64 v[32:33], v[28:29], v[74:75]
	v_add_f64 v[28:29], v[78:79], v[70:71]
	s_mov_b32 s0, 0x134454ff
	v_fmac_f64_e32 v[96:97], v[156:157], v[44:45]
	v_mul_f64 v[44:45], v[158:159], v[44:45]
	v_fmac_f64_e32 v[52:53], v[184:185], v[40:41]
	v_mul_f64 v[40:41], v[186:187], v[40:41]
	;; [unrolled: 2-line block ×3, first 2 shown]
	v_fma_f64 v[28:29], -0.5, v[28:29], v[24:25]
	v_add_f64 v[30:31], v[76:77], -v[82:83]
	s_mov_b32 s1, 0xbfee6f0e
	s_mov_b32 s10, 0x4755a5e
	;; [unrolled: 1-line block ×3, first 2 shown]
	v_fma_f64 v[98:99], v[156:157], v[46:47], -v[44:45]
	v_fma_f64 v[44:45], v[184:185], v[42:43], -v[40:41]
	;; [unrolled: 1-line block ×3, first 2 shown]
	v_fma_f64 v[36:37], s[0:1], v[30:31], v[28:29]
	v_add_f64 v[34:35], v[68:69], -v[72:73]
	s_mov_b32 s11, 0xbfe2cf23
	v_add_f64 v[38:39], v[80:81], -v[78:79]
	v_add_f64 v[40:41], v[74:75], -v[70:71]
	v_fmac_f64_e32 v[28:29], s[14:15], v[30:31]
	s_mov_b32 s16, s10
	v_fmac_f64_e32 v[36:37], s[10:11], v[34:35]
	v_add_f64 v[38:39], v[38:39], v[40:41]
	v_fmac_f64_e32 v[28:29], s[16:17], v[34:35]
	v_fmac_f64_e32 v[36:37], s[12:13], v[38:39]
	;; [unrolled: 1-line block ×3, first 2 shown]
	v_add_f64 v[38:39], v[80:81], v[74:75]
	v_fmac_f64_e32 v[24:25], -0.5, v[38:39]
	v_fma_f64 v[40:41], s[14:15], v[34:35], v[24:25]
	v_fmac_f64_e32 v[24:25], s[0:1], v[34:35]
	v_fmac_f64_e32 v[40:41], s[10:11], v[30:31]
	v_fmac_f64_e32 v[24:25], s[16:17], v[30:31]
	v_add_f64 v[30:31], v[26:27], v[76:77]
	v_add_f64 v[30:31], v[30:31], v[68:69]
	v_add_f64 v[30:31], v[30:31], v[72:73]
	v_mul_f64 v[84:85], v[170:171], v[66:67]
	v_add_f64 v[38:39], v[78:79], -v[80:81]
	v_add_f64 v[42:43], v[70:71], -v[74:75]
	v_add_f64 v[34:35], v[30:31], v[82:83]
	v_add_f64 v[30:31], v[68:69], v[72:73]
	v_fmac_f64_e32 v[84:85], v[168:169], v[64:65]
	v_add_f64 v[38:39], v[38:39], v[42:43]
	v_fma_f64 v[30:31], -0.5, v[30:31], v[26:27]
	v_add_f64 v[64:65], v[80:81], -v[74:75]
	v_fmac_f64_e32 v[40:41], s[12:13], v[38:39]
	v_fmac_f64_e32 v[24:25], s[12:13], v[38:39]
	v_fma_f64 v[38:39], s[14:15], v[64:65], v[30:31]
	v_add_f64 v[66:67], v[78:79], -v[70:71]
	v_add_f64 v[42:43], v[76:77], -v[68:69]
	;; [unrolled: 1-line block ×3, first 2 shown]
	v_fmac_f64_e32 v[30:31], s[0:1], v[64:65]
	v_fmac_f64_e32 v[38:39], s[16:17], v[66:67]
	v_add_f64 v[42:43], v[42:43], v[70:71]
	v_fmac_f64_e32 v[30:31], s[10:11], v[66:67]
	v_fmac_f64_e32 v[38:39], s[12:13], v[42:43]
	;; [unrolled: 1-line block ×3, first 2 shown]
	v_add_f64 v[42:43], v[76:77], v[82:83]
	v_fmac_f64_e32 v[26:27], -0.5, v[42:43]
	v_fma_f64 v[42:43], s[0:1], v[66:67], v[26:27]
	v_add_f64 v[68:69], v[68:69], -v[76:77]
	v_add_f64 v[70:71], v[72:73], -v[82:83]
	v_fmac_f64_e32 v[26:27], s[14:15], v[66:67]
	v_fmac_f64_e32 v[42:43], s[16:17], v[64:65]
	v_add_f64 v[68:69], v[68:69], v[70:71]
	v_fmac_f64_e32 v[26:27], s[10:11], v[64:65]
	v_add_f64 v[66:67], v[88:89], v[92:93]
	v_fmac_f64_e32 v[42:43], s[12:13], v[68:69]
	v_fmac_f64_e32 v[26:27], s[12:13], v[68:69]
	v_fma_f64 v[68:69], -0.5, v[66:67], v[20:21]
	v_add_f64 v[66:67], v[86:87], -v[98:99]
	v_fma_f64 v[72:73], s[0:1], v[66:67], v[68:69]
	v_add_f64 v[70:71], v[90:91], -v[94:95]
	v_add_f64 v[74:75], v[84:85], -v[88:89]
	;; [unrolled: 1-line block ×3, first 2 shown]
	v_fmac_f64_e32 v[68:69], s[14:15], v[66:67]
	v_fmac_f64_e32 v[72:73], s[10:11], v[70:71]
	v_add_f64 v[74:75], v[74:75], v[76:77]
	v_fmac_f64_e32 v[68:69], s[16:17], v[70:71]
	v_fmac_f64_e32 v[72:73], s[12:13], v[74:75]
	;; [unrolled: 1-line block ×3, first 2 shown]
	v_add_f64 v[74:75], v[84:85], v[96:97]
	v_add_f64 v[64:65], v[20:21], v[84:85]
	v_fmac_f64_e32 v[20:21], -0.5, v[74:75]
	v_fma_f64 v[76:77], s[14:15], v[70:71], v[20:21]
	v_add_f64 v[74:75], v[88:89], -v[84:85]
	v_add_f64 v[78:79], v[92:93], -v[96:97]
	v_fmac_f64_e32 v[20:21], s[0:1], v[70:71]
	v_add_f64 v[70:71], v[90:91], v[94:95]
	v_fmac_f64_e32 v[76:77], s[10:11], v[66:67]
	v_add_f64 v[74:75], v[74:75], v[78:79]
	v_fmac_f64_e32 v[20:21], s[16:17], v[66:67]
	v_fma_f64 v[70:71], -0.5, v[70:71], v[22:23]
	v_add_f64 v[80:81], v[84:85], -v[96:97]
	v_fmac_f64_e32 v[76:77], s[12:13], v[74:75]
	v_fmac_f64_e32 v[20:21], s[12:13], v[74:75]
	v_fma_f64 v[74:75], s[14:15], v[80:81], v[70:71]
	v_add_f64 v[82:83], v[88:89], -v[92:93]
	v_add_f64 v[78:79], v[86:87], -v[90:91]
	;; [unrolled: 1-line block ×3, first 2 shown]
	v_fmac_f64_e32 v[70:71], s[0:1], v[80:81]
	v_fmac_f64_e32 v[74:75], s[16:17], v[82:83]
	v_add_f64 v[78:79], v[78:79], v[84:85]
	v_fmac_f64_e32 v[70:71], s[10:11], v[82:83]
	v_fmac_f64_e32 v[74:75], s[12:13], v[78:79]
	;; [unrolled: 1-line block ×3, first 2 shown]
	v_add_f64 v[78:79], v[86:87], v[98:99]
	v_add_f64 v[66:67], v[22:23], v[86:87]
	v_fmac_f64_e32 v[22:23], -0.5, v[78:79]
	v_fma_f64 v[78:79], s[0:1], v[82:83], v[22:23]
	v_add_f64 v[84:85], v[90:91], -v[86:87]
	v_add_f64 v[86:87], v[94:95], -v[98:99]
	v_fmac_f64_e32 v[22:23], s[14:15], v[82:83]
	v_fmac_f64_e32 v[78:79], s[16:17], v[80:81]
	v_add_f64 v[84:85], v[84:85], v[86:87]
	v_fmac_f64_e32 v[22:23], s[10:11], v[80:81]
	v_add_f64 v[82:83], v[54:55], v[56:57]
	v_add_f64 v[64:65], v[64:65], v[88:89]
	v_fmac_f64_e32 v[78:79], s[12:13], v[84:85]
	v_fmac_f64_e32 v[22:23], s[12:13], v[84:85]
	v_fma_f64 v[84:85], -0.5, v[82:83], v[16:17]
	v_add_f64 v[82:83], v[44:45], -v[50:51]
	v_add_f64 v[64:65], v[64:65], v[92:93]
	v_add_f64 v[66:67], v[66:67], v[90:91]
	v_fma_f64 v[88:89], s[0:1], v[82:83], v[84:85]
	v_add_f64 v[86:87], v[46:47], -v[48:49]
	v_add_f64 v[90:91], v[52:53], -v[54:55]
	;; [unrolled: 1-line block ×3, first 2 shown]
	v_fmac_f64_e32 v[84:85], s[14:15], v[82:83]
	v_fmac_f64_e32 v[88:89], s[10:11], v[86:87]
	v_add_f64 v[90:91], v[90:91], v[92:93]
	v_fmac_f64_e32 v[84:85], s[16:17], v[86:87]
	v_fmac_f64_e32 v[88:89], s[12:13], v[90:91]
	;; [unrolled: 1-line block ×3, first 2 shown]
	v_add_f64 v[90:91], v[52:53], v[58:59]
	v_add_f64 v[80:81], v[16:17], v[52:53]
	v_fmac_f64_e32 v[16:17], -0.5, v[90:91]
	v_add_f64 v[66:67], v[66:67], v[94:95]
	v_add_f64 v[80:81], v[80:81], v[54:55]
	v_fma_f64 v[92:93], s[14:15], v[86:87], v[16:17]
	v_add_f64 v[90:91], v[54:55], -v[52:53]
	v_add_f64 v[94:95], v[56:57], -v[58:59]
	v_fmac_f64_e32 v[16:17], s[0:1], v[86:87]
	v_add_f64 v[86:87], v[46:47], v[48:49]
	v_add_f64 v[80:81], v[80:81], v[56:57]
	v_fmac_f64_e32 v[92:93], s[10:11], v[82:83]
	v_add_f64 v[90:91], v[90:91], v[94:95]
	v_fmac_f64_e32 v[16:17], s[16:17], v[82:83]
	v_fma_f64 v[86:87], -0.5, v[86:87], v[18:19]
	v_add_f64 v[52:53], v[52:53], -v[58:59]
	v_add_f64 v[80:81], v[80:81], v[58:59]
	v_fmac_f64_e32 v[92:93], s[12:13], v[90:91]
	v_fmac_f64_e32 v[16:17], s[12:13], v[90:91]
	v_fma_f64 v[90:91], s[14:15], v[52:53], v[86:87]
	v_add_f64 v[54:55], v[54:55], -v[56:57]
	v_add_f64 v[56:57], v[44:45], -v[46:47]
	;; [unrolled: 1-line block ×3, first 2 shown]
	v_fmac_f64_e32 v[86:87], s[0:1], v[52:53]
	v_fmac_f64_e32 v[90:91], s[16:17], v[54:55]
	v_add_f64 v[56:57], v[56:57], v[58:59]
	v_fmac_f64_e32 v[86:87], s[10:11], v[54:55]
	v_fmac_f64_e32 v[90:91], s[12:13], v[56:57]
	;; [unrolled: 1-line block ×3, first 2 shown]
	v_add_f64 v[56:57], v[44:45], v[50:51]
	v_add_f64 v[82:83], v[18:19], v[44:45]
	v_fmac_f64_e32 v[18:19], -0.5, v[56:57]
	v_add_f64 v[82:83], v[82:83], v[46:47]
	v_fma_f64 v[94:95], s[0:1], v[54:55], v[18:19]
	v_add_f64 v[44:45], v[46:47], -v[44:45]
	v_add_f64 v[46:47], v[48:49], -v[50:51]
	v_fmac_f64_e32 v[18:19], s[14:15], v[54:55]
	v_fmac_f64_e32 v[94:95], s[16:17], v[52:53]
	v_add_f64 v[44:45], v[44:45], v[46:47]
	v_fmac_f64_e32 v[18:19], s[10:11], v[52:53]
	v_fmac_f64_e32 v[94:95], s[12:13], v[44:45]
	v_fmac_f64_e32 v[18:19], s[12:13], v[44:45]
	v_accvgpr_read_b32 v44, a107
	v_add_f64 v[64:65], v[64:65], v[96:97]
	v_add_f64 v[66:67], v[66:67], v[98:99]
	;; [unrolled: 1-line block ×3, first 2 shown]
	s_barrier
	ds_write_b128 v44, v[32:35]
	ds_write_b128 v44, v[36:39] offset:400
	ds_write_b128 v44, v[40:43] offset:800
	;; [unrolled: 1-line block ×4, first 2 shown]
	v_accvgpr_read_b32 v24, a108
	v_add_f64 v[82:83], v[82:83], v[50:51]
	ds_write_b128 v24, v[64:67]
	ds_write_b128 v24, v[72:75] offset:400
	ds_write_b128 v24, v[76:79] offset:800
	;; [unrolled: 1-line block ×4, first 2 shown]
	ds_write_b128 v101, v[80:83]
	ds_write_b128 v101, v[88:91] offset:400
	ds_write_b128 v101, v[92:95] offset:800
	ds_write_b128 v101, v[16:19] offset:1200
	ds_write_b128 v101, v[84:87] offset:1600
	s_and_saveexec_b64 s[18:19], s[2:3]
	s_cbranch_execz .LBB0_29
; %bb.28:
	v_accvgpr_read_b32 v40, a96
	v_accvgpr_read_b32 v32, a90
	v_accvgpr_read_b32 v42, a98
	v_accvgpr_read_b32 v43, a99
	v_accvgpr_read_b32 v44, a102
	v_accvgpr_read_b32 v34, a92
	v_accvgpr_read_b32 v35, a93
	v_accvgpr_read_b32 v36, a86
	v_accvgpr_read_b32 v41, a97
	v_mul_f64 v[16:17], v[42:43], v[60:61]
	v_accvgpr_read_b32 v46, a104
	v_accvgpr_read_b32 v47, a105
	;; [unrolled: 1-line block ×3, first 2 shown]
	v_mul_f64 v[20:21], v[34:35], v[12:13]
	v_accvgpr_read_b32 v38, a88
	v_accvgpr_read_b32 v39, a89
	v_fma_f64 v[18:19], v[40:41], v[62:63], -v[16:17]
	v_accvgpr_read_b32 v45, a103
	v_mul_f64 v[16:17], v[46:47], v[4:5]
	v_fma_f64 v[24:25], v[32:33], v[14:15], -v[20:21]
	v_accvgpr_read_b32 v37, a87
	v_mul_f64 v[20:21], v[38:39], v[8:9]
	v_mul_f64 v[30:31], v[34:35], v[14:15]
	v_fma_f64 v[22:23], v[44:45], v[6:7], -v[16:17]
	v_fma_f64 v[26:27], v[36:37], v[10:11], -v[20:21]
	v_fmac_f64_e32 v[30:31], v[32:33], v[12:13]
	v_mul_f64 v[32:33], v[46:47], v[6:7]
	v_mul_f64 v[34:35], v[38:39], v[10:11]
	v_mul_f64 v[28:29], v[42:43], v[62:63]
	v_fmac_f64_e32 v[32:33], v[44:45], v[4:5]
	v_fmac_f64_e32 v[34:35], v[36:37], v[8:9]
	v_add_f64 v[4:5], v[22:23], -v[18:19]
	v_add_f64 v[8:9], v[26:27], -v[24:25]
	v_fmac_f64_e32 v[28:29], v[40:41], v[60:61]
	v_add_f64 v[12:13], v[22:23], v[26:27]
	v_add_f64 v[10:11], v[4:5], v[8:9]
	;; [unrolled: 1-line block ×3, first 2 shown]
	v_add_f64 v[16:17], v[18:19], -v[22:23]
	v_add_f64 v[20:21], v[24:25], -v[26:27]
	;; [unrolled: 1-line block ×3, first 2 shown]
	v_fma_f64 v[12:13], -0.5, v[12:13], v[2:3]
	v_fma_f64 v[4:5], -0.5, v[4:5], v[2:3]
	v_add_f64 v[2:3], v[2:3], v[22:23]
	v_add_f64 v[20:21], v[16:17], v[20:21]
	v_fma_f64 v[16:17], s[14:15], v[14:15], v[12:13]
	v_add_f64 v[6:7], v[32:33], -v[34:35]
	v_fmac_f64_e32 v[12:13], s[0:1], v[14:15]
	v_add_f64 v[2:3], v[2:3], v[18:19]
	v_fmac_f64_e32 v[16:17], s[10:11], v[6:7]
	v_fmac_f64_e32 v[12:13], s[16:17], v[6:7]
	v_add_f64 v[2:3], v[2:3], v[24:25]
	v_fmac_f64_e32 v[16:17], s[12:13], v[20:21]
	v_fmac_f64_e32 v[12:13], s[12:13], v[20:21]
	v_fma_f64 v[8:9], s[0:1], v[6:7], v[4:5]
	v_fmac_f64_e32 v[4:5], s[14:15], v[6:7]
	v_add_f64 v[20:21], v[2:3], v[26:27]
	v_add_f64 v[2:3], v[28:29], -v[32:33]
	v_add_f64 v[6:7], v[30:31], -v[34:35]
	v_fmac_f64_e32 v[8:9], s[10:11], v[14:15]
	v_fmac_f64_e32 v[4:5], s[16:17], v[14:15]
	v_add_f64 v[2:3], v[2:3], v[6:7]
	v_add_f64 v[6:7], v[32:33], v[34:35]
	v_fmac_f64_e32 v[8:9], s[12:13], v[10:11]
	v_fmac_f64_e32 v[4:5], s[12:13], v[10:11]
	v_fma_f64 v[10:11], -0.5, v[6:7], v[0:1]
	v_add_f64 v[18:19], v[18:19], -v[24:25]
	v_add_f64 v[22:23], v[22:23], -v[26:27]
	v_fma_f64 v[14:15], s[0:1], v[18:19], v[10:11]
	v_fmac_f64_e32 v[10:11], s[14:15], v[18:19]
	v_fmac_f64_e32 v[14:15], s[16:17], v[22:23]
	;; [unrolled: 1-line block ×5, first 2 shown]
	v_add_f64 v[2:3], v[32:33], -v[28:29]
	v_add_f64 v[6:7], v[34:35], -v[30:31]
	v_add_f64 v[24:25], v[2:3], v[6:7]
	v_add_f64 v[2:3], v[28:29], v[30:31]
	v_fma_f64 v[2:3], -0.5, v[2:3], v[0:1]
	v_add_f64 v[0:1], v[0:1], v[32:33]
	v_add_f64 v[0:1], v[0:1], v[28:29]
	v_fma_f64 v[6:7], s[14:15], v[22:23], v[2:3]
	v_fmac_f64_e32 v[2:3], s[0:1], v[22:23]
	v_add_f64 v[0:1], v[0:1], v[30:31]
	v_fmac_f64_e32 v[6:7], s[16:17], v[18:19]
	v_fmac_f64_e32 v[2:3], s[10:11], v[18:19]
	v_add_f64 v[18:19], v[0:1], v[34:35]
	v_accvgpr_read_b32 v0, a106
	v_fmac_f64_e32 v[6:7], s[12:13], v[24:25]
	v_fmac_f64_e32 v[2:3], s[12:13], v[24:25]
	ds_write_b128 v0, v[18:21] offset:30000
	ds_write_b128 v0, v[2:5] offset:30400
	;; [unrolled: 1-line block ×5, first 2 shown]
.LBB0_29:
	s_or_b64 exec, exec, s[18:19]
	s_waitcnt lgkmcnt(0)
	s_barrier
	ds_read_b128 v[6:9], v100
	ds_read_b128 v[10:13], v100 offset:2000
	ds_read_b128 v[14:17], v100 offset:4000
	;; [unrolled: 1-line block ×15, first 2 shown]
	s_waitcnt lgkmcnt(14)
	v_mul_f64 v[70:71], v[214:215], v[12:13]
	v_fmac_f64_e32 v[70:71], v[212:213], v[10:11]
	v_mul_f64 v[10:11], v[214:215], v[10:11]
	v_fma_f64 v[10:11], v[212:213], v[12:13], -v[10:11]
	s_waitcnt lgkmcnt(13)
	v_mul_f64 v[12:13], v[198:199], v[16:17]
	v_fmac_f64_e32 v[12:13], v[196:197], v[14:15]
	v_mul_f64 v[14:15], v[198:199], v[14:15]
	v_fma_f64 v[14:15], v[196:197], v[16:17], -v[14:15]
	;; [unrolled: 5-line block ×14, first 2 shown]
	s_waitcnt lgkmcnt(0)
	v_mul_f64 v[64:65], v[234:235], v[68:69]
	v_accvgpr_read_b32 v92, a58
	v_fmac_f64_e32 v[64:65], v[232:233], v[66:67]
	v_mul_f64 v[66:67], v[234:235], v[66:67]
	v_mad_u64_u32 v[2:3], s[0:1], s6, v92, 0
	v_fma_f64 v[66:67], v[232:233], v[68:69], -v[66:67]
	v_add_f64 v[36:37], v[6:7], -v[36:37]
	v_add_f64 v[38:39], v[8:9], -v[38:39]
	;; [unrolled: 1-line block ×16, first 2 shown]
	s_mov_b32 s0, 0x667f3bcd
	v_mov_b32_e32 v0, s8
	v_mov_b32_e32 v1, s9
	v_fma_f64 v[6:7], v[6:7], 2.0, -v[36:37]
	v_fma_f64 v[8:9], v[8:9], 2.0, -v[38:39]
	;; [unrolled: 1-line block ×16, first 2 shown]
	v_add_f64 v[54:55], v[36:37], v[54:55]
	v_add_f64 v[52:53], v[38:39], -v[52:53]
	v_add_f64 v[62:63], v[44:45], v[62:63]
	v_add_f64 v[60:61], v[46:47], -v[60:61]
	s_mov_b32 s1, 0xbfe6a09e
	s_mov_b32 s9, 0x3fe6a09e
	;; [unrolled: 1-line block ×3, first 2 shown]
	v_add_f64 v[20:21], v[6:7], -v[20:21]
	v_add_f64 v[22:23], v[8:9], -v[22:23]
	v_fma_f64 v[36:37], v[36:37], 2.0, -v[54:55]
	v_fma_f64 v[38:39], v[38:39], 2.0, -v[52:53]
	v_add_f64 v[28:29], v[12:13], -v[28:29]
	v_add_f64 v[30:31], v[14:15], -v[30:31]
	v_fma_f64 v[44:45], v[44:45], 2.0, -v[62:63]
	v_fma_f64 v[46:47], v[46:47], 2.0, -v[60:61]
	v_add_f64 v[24:25], v[68:69], -v[24:25]
	v_add_f64 v[26:27], v[10:11], -v[26:27]
	v_add_f64 v[58:59], v[40:41], v[58:59]
	v_add_f64 v[32:33], v[16:17], -v[32:33]
	v_add_f64 v[34:35], v[18:19], -v[34:35]
	v_add_f64 v[66:67], v[48:49], v[66:67]
	v_fma_f64 v[82:83], s[8:9], v[62:63], v[54:55]
	v_fma_f64 v[84:85], s[8:9], v[60:61], v[52:53]
	v_fma_f64 v[6:7], v[6:7], 2.0, -v[20:21]
	v_fma_f64 v[8:9], v[8:9], 2.0, -v[22:23]
	;; [unrolled: 1-line block ×6, first 2 shown]
	v_add_f64 v[56:57], v[42:43], -v[56:57]
	v_fma_f64 v[40:41], v[40:41], 2.0, -v[58:59]
	v_fma_f64 v[16:17], v[16:17], 2.0, -v[32:33]
	;; [unrolled: 1-line block ×3, first 2 shown]
	v_add_f64 v[64:65], v[50:51], -v[64:65]
	v_fma_f64 v[48:49], v[48:49], 2.0, -v[66:67]
	v_fma_f64 v[74:75], s[0:1], v[44:45], v[36:37]
	v_fma_f64 v[76:77], s[0:1], v[46:47], v[38:39]
	v_fmac_f64_e32 v[82:83], s[8:9], v[60:61]
	v_fmac_f64_e32 v[84:85], s[0:1], v[62:63]
	v_fma_f64 v[42:43], v[42:43], 2.0, -v[56:57]
	v_fma_f64 v[50:51], v[50:51], 2.0, -v[64:65]
	v_add_f64 v[70:71], v[6:7], -v[12:13]
	v_add_f64 v[72:73], v[8:9], -v[14:15]
	v_fmac_f64_e32 v[74:75], s[8:9], v[46:47]
	v_fmac_f64_e32 v[76:77], s[0:1], v[44:45]
	v_add_f64 v[80:81], v[22:23], -v[28:29]
	v_fma_f64 v[44:45], v[54:55], 2.0, -v[82:83]
	v_fma_f64 v[46:47], v[52:53], 2.0, -v[84:85]
	v_add_f64 v[52:53], v[68:69], -v[16:17]
	v_add_f64 v[54:55], v[10:11], -v[18:19]
	v_fma_f64 v[60:61], s[0:1], v[48:49], v[40:41]
	v_add_f64 v[86:87], v[26:27], -v[32:33]
	v_fma_f64 v[90:91], s[8:9], v[64:65], v[56:57]
	v_fma_f64 v[12:13], v[6:7], 2.0, -v[70:71]
	v_fma_f64 v[14:15], v[8:9], 2.0, -v[72:73]
	v_add_f64 v[78:79], v[20:21], v[30:31]
	v_fma_f64 v[30:31], v[22:23], 2.0, -v[80:81]
	v_fma_f64 v[6:7], v[68:69], 2.0, -v[52:53]
	;; [unrolled: 1-line block ×3, first 2 shown]
	v_fma_f64 v[62:63], s[0:1], v[50:51], v[42:43]
	v_fmac_f64_e32 v[60:61], s[8:9], v[50:51]
	v_add_f64 v[68:69], v[24:25], v[34:35]
	v_fma_f64 v[26:27], v[26:27], 2.0, -v[86:87]
	v_fma_f64 v[88:89], s[8:9], v[66:67], v[58:59]
	v_fmac_f64_e32 v[90:91], s[0:1], v[66:67]
	s_mov_b32 s12, 0xcf328d46
	s_mov_b32 s10, 0xa6aea964
	v_fma_f64 v[36:37], v[36:37], 2.0, -v[74:75]
	v_fma_f64 v[28:29], v[20:21], 2.0, -v[78:79]
	v_fmac_f64_e32 v[62:63], s[0:1], v[48:49]
	v_fma_f64 v[18:19], v[40:41], 2.0, -v[60:61]
	v_fma_f64 v[32:33], v[24:25], 2.0, -v[68:69]
	v_fmac_f64_e32 v[88:89], s[8:9], v[64:65]
	v_fma_f64 v[40:41], v[56:57], 2.0, -v[90:91]
	v_add_f64 v[6:7], v[12:13], -v[6:7]
	v_add_f64 v[8:9], v[14:15], -v[8:9]
	s_mov_b32 s13, 0xbfed906b
	s_mov_b32 s11, 0x3fd87de2
	;; [unrolled: 1-line block ×4, first 2 shown]
	v_fma_f64 v[24:25], s[0:1], v[26:27], v[30:31]
	v_fma_f64 v[38:39], v[38:39], 2.0, -v[76:77]
	v_fma_f64 v[20:21], v[42:43], 2.0, -v[62:63]
	;; [unrolled: 1-line block ×5, first 2 shown]
	v_fma_f64 v[14:15], s[12:13], v[18:19], v[36:37]
	v_fma_f64 v[22:23], s[0:1], v[32:33], v[28:29]
	v_fmac_f64_e32 v[24:25], s[0:1], v[32:33]
	v_fma_f64 v[32:33], s[14:15], v[40:41], v[46:47]
	v_fma_f64 v[16:17], s[12:13], v[20:21], v[38:39]
	v_fmac_f64_e32 v[14:15], s[10:11], v[20:21]
	v_fmac_f64_e32 v[32:33], s[12:13], v[34:35]
	;; [unrolled: 1-line block ×3, first 2 shown]
	v_fma_f64 v[18:19], v[36:37], 2.0, -v[14:15]
	v_fmac_f64_e32 v[22:23], s[8:9], v[26:27]
	s_mov_b32 s17, 0x3fed906b
	s_mov_b32 s16, s12
	v_fma_f64 v[36:37], v[46:47], 2.0, -v[32:33]
	v_fma_f64 v[46:47], s[10:11], v[60:61], v[74:75]
	v_fma_f64 v[20:21], v[38:39], 2.0, -v[16:17]
	v_fma_f64 v[26:27], v[28:29], 2.0, -v[22:23]
	;; [unrolled: 1-line block ×3, first 2 shown]
	v_fma_f64 v[30:31], s[14:15], v[34:35], v[44:45]
	v_add_f64 v[38:39], v[70:71], v[54:55]
	v_fma_f64 v[48:49], s[10:11], v[62:63], v[76:77]
	v_fmac_f64_e32 v[46:47], s[16:17], v[62:63]
	v_fma_f64 v[54:55], s[8:9], v[68:69], v[78:79]
	v_fma_f64 v[56:57], s[8:9], v[86:87], v[80:81]
	;; [unrolled: 1-line block ×4, first 2 shown]
	v_fmac_f64_e32 v[30:31], s[16:17], v[40:41]
	v_add_f64 v[40:41], v[72:73], -v[52:53]
	v_fmac_f64_e32 v[48:49], s[12:13], v[60:61]
	v_fmac_f64_e32 v[54:55], s[8:9], v[86:87]
	v_fmac_f64_e32 v[56:57], s[0:1], v[68:69]
	v_fmac_f64_e32 v[62:63], s[10:11], v[90:91]
	v_fmac_f64_e32 v[64:65], s[14:15], v[88:89]
	v_fma_f64 v[34:35], v[44:45], 2.0, -v[30:31]
	v_fma_f64 v[42:43], v[70:71], 2.0, -v[38:39]
	;; [unrolled: 1-line block ×9, first 2 shown]
	ds_write_b128 v100, v[10:13]
	ds_write_b128 v100, v[18:21] offset:2000
	ds_write_b128 v100, v[26:29] offset:4000
	;; [unrolled: 1-line block ×15, first 2 shown]
	s_waitcnt lgkmcnt(0)
	s_barrier
	ds_read_b128 v[6:9], v100
	ds_read_b128 v[10:13], v100 offset:2000
	v_mov_b32_e32 v4, v3
	v_accvgpr_read_b32 v14, a26
	v_mad_u64_u32 v[4:5], s[0:1], s7, v92, v[4:5]
	v_accvgpr_read_b32 v16, a28
	v_accvgpr_read_b32 v17, a29
	v_mov_b32_e32 v3, v4
	v_accvgpr_read_b32 v15, a27
	s_waitcnt lgkmcnt(1)
	v_mul_f64 v[4:5], v[16:17], v[8:9]
	v_fmac_f64_e32 v[4:5], v[14:15], v[6:7]
	v_mul_f64 v[6:7], v[16:17], v[6:7]
	v_accvgpr_read_b32 v16, a8
	v_fma_f64 v[6:7], v[14:15], v[8:9], -v[6:7]
	v_mad_u64_u32 v[8:9], s[6:7], s4, v16, 0
	v_mov_b32_e32 v14, v9
	v_mad_u64_u32 v[14:15], s[6:7], s5, v16, v[14:15]
	v_mov_b32_e32 v9, v14
	ds_read_b128 v[14:17], v100 offset:6400
	s_mov_b32 s0, 0xd2f1a9fc
	s_mov_b32 s1, 0x3f40624d
	v_lshl_add_u64 v[0:1], v[2:3], 4, v[0:1]
	v_accvgpr_read_b32 v21, a3
	v_mul_f64 v[4:5], v[4:5], s[0:1]
	v_mul_f64 v[6:7], v[6:7], s[0:1]
	v_lshl_add_u64 v[8:9], v[8:9], 4, v[0:1]
	ds_read_b128 v[0:3], v100 offset:4000
	v_accvgpr_read_b32 v20, a2
	global_store_dwordx4 v[8:9], v[4:7], off
	v_accvgpr_read_b32 v19, a1
	v_accvgpr_read_b32 v18, a0
	s_waitcnt lgkmcnt(1)
	v_mul_f64 v[4:5], v[20:21], v[16:17]
	v_mul_f64 v[6:7], v[20:21], v[14:15]
	v_fmac_f64_e32 v[4:5], v[18:19], v[14:15]
	v_fma_f64 v[6:7], v[18:19], v[16:17], -v[6:7]
	ds_read_b128 v[14:17], v100 offset:12800
	s_mul_i32 s6, s5, 0x190
	s_mul_hi_u32 s7, s4, 0x190
	s_add_i32 s7, s7, s6
	s_mul_i32 s6, s4, 0x190
	s_lshl_b64 s[6:7], s[6:7], 4
	v_accvgpr_read_b32 v23, a13
	v_mul_f64 v[4:5], v[4:5], s[0:1]
	v_mul_f64 v[6:7], v[6:7], s[0:1]
	v_lshl_add_u64 v[8:9], v[8:9], 0, s[6:7]
	v_accvgpr_read_b32 v22, a12
	global_store_dwordx4 v[8:9], v[4:7], off
	ds_read_b128 v[4:7], v100 offset:14800
	v_accvgpr_read_b32 v21, a11
	v_accvgpr_read_b32 v20, a10
	s_waitcnt lgkmcnt(1)
	v_mul_f64 v[18:19], v[22:23], v[16:17]
	v_fmac_f64_e32 v[18:19], v[20:21], v[14:15]
	v_mul_f64 v[14:15], v[22:23], v[14:15]
	v_fma_f64 v[20:21], v[20:21], v[16:17], -v[14:15]
	ds_read_b128 v[14:17], v100 offset:19200
	v_accvgpr_read_b32 v27, a7
	v_mul_f64 v[18:19], v[18:19], s[0:1]
	v_mul_f64 v[20:21], v[20:21], s[0:1]
	v_lshl_add_u64 v[8:9], v[8:9], 0, s[6:7]
	v_accvgpr_read_b32 v26, a6
	global_store_dwordx4 v[8:9], v[18:21], off
	ds_read_b128 v[18:21], v100 offset:16800
	v_accvgpr_read_b32 v25, a5
	v_accvgpr_read_b32 v24, a4
	s_waitcnt lgkmcnt(1)
	v_mul_f64 v[22:23], v[26:27], v[16:17]
	v_fmac_f64_e32 v[22:23], v[24:25], v[14:15]
	v_mul_f64 v[14:15], v[26:27], v[14:15]
	v_fma_f64 v[24:25], v[24:25], v[16:17], -v[14:15]
	ds_read_b128 v[14:17], v100 offset:25600
	v_accvgpr_read_b32 v31, a17
	v_mul_f64 v[22:23], v[22:23], s[0:1]
	v_mul_f64 v[24:25], v[24:25], s[0:1]
	v_lshl_add_u64 v[8:9], v[8:9], 0, s[6:7]
	v_accvgpr_read_b32 v30, a16
	global_store_dwordx4 v[8:9], v[22:25], off
	ds_read_b128 v[22:25], v100 offset:27600
	v_accvgpr_read_b32 v29, a15
	v_accvgpr_read_b32 v28, a14
	s_waitcnt lgkmcnt(1)
	v_mul_f64 v[26:27], v[30:31], v[16:17]
	v_fmac_f64_e32 v[26:27], v[28:29], v[14:15]
	v_mul_f64 v[14:15], v[30:31], v[14:15]
	v_fma_f64 v[14:15], v[28:29], v[16:17], -v[14:15]
	v_mul_f64 v[26:27], v[26:27], s[0:1]
	v_mul_f64 v[28:29], v[14:15], s[0:1]
	v_lshl_add_u64 v[16:17], v[8:9], 0, s[6:7]
	global_store_dwordx4 v[16:17], v[26:29], off
	s_mul_hi_u32 s8, s4, 0xfffffa3d
	s_mulk_i32 s5, 0xfa3d
	v_accvgpr_read_b32 v29, a21
	v_accvgpr_read_b32 v28, a20
	;; [unrolled: 1-line block ×4, first 2 shown]
	v_mul_f64 v[8:9], v[28:29], v[12:13]
	v_fmac_f64_e32 v[8:9], v[26:27], v[10:11]
	v_mul_f64 v[10:11], v[28:29], v[10:11]
	v_fma_f64 v[10:11], v[26:27], v[12:13], -v[10:11]
	ds_read_b128 v[12:15], v100 offset:8400
	s_sub_i32 s8, s8, s4
	s_add_i32 s5, s8, s5
	s_mulk_i32 s4, 0xfa3d
	s_lshl_b64 s[8:9], s[4:5], 4
	v_accvgpr_read_b32 v31, a25
	v_mul_f64 v[8:9], v[8:9], s[0:1]
	v_mul_f64 v[10:11], v[10:11], s[0:1]
	v_lshl_add_u64 v[16:17], v[16:17], 0, s[8:9]
	v_accvgpr_read_b32 v30, a24
	global_store_dwordx4 v[16:17], v[8:11], off
	ds_read_b128 v[8:11], v100 offset:10400
	v_accvgpr_read_b32 v29, a23
	v_accvgpr_read_b32 v28, a22
	s_waitcnt lgkmcnt(1)
	v_mul_f64 v[26:27], v[30:31], v[14:15]
	v_fmac_f64_e32 v[26:27], v[28:29], v[12:13]
	v_mul_f64 v[12:13], v[30:31], v[12:13]
	v_fma_f64 v[12:13], v[28:29], v[14:15], -v[12:13]
	v_mul_f64 v[26:27], v[26:27], s[0:1]
	v_mul_f64 v[28:29], v[12:13], s[0:1]
	v_lshl_add_u64 v[16:17], v[16:17], 0, s[6:7]
	global_store_dwordx4 v[16:17], v[26:29], off
	v_lshl_add_u64 v[16:17], v[16:17], 0, s[6:7]
	s_nop 0
	v_accvgpr_read_b32 v26, a30
	v_accvgpr_read_b32 v28, a32
	;; [unrolled: 1-line block ×4, first 2 shown]
	v_mul_f64 v[12:13], v[28:29], v[6:7]
	v_fmac_f64_e32 v[12:13], v[26:27], v[4:5]
	v_mul_f64 v[4:5], v[28:29], v[4:5]
	v_fma_f64 v[14:15], v[26:27], v[6:7], -v[4:5]
	ds_read_b128 v[4:7], v100 offset:21200
	v_accvgpr_read_b32 v28, a34
	v_mul_f64 v[12:13], v[12:13], s[0:1]
	v_mul_f64 v[14:15], v[14:15], s[0:1]
	v_accvgpr_read_b32 v30, a36
	v_accvgpr_read_b32 v31, a37
	global_store_dwordx4 v[16:17], v[12:15], off
	ds_read_b128 v[12:15], v100 offset:23200
	v_accvgpr_read_b32 v29, a35
	s_waitcnt lgkmcnt(1)
	v_mul_f64 v[26:27], v[30:31], v[6:7]
	v_fmac_f64_e32 v[26:27], v[28:29], v[4:5]
	v_mul_f64 v[4:5], v[30:31], v[4:5]
	v_fma_f64 v[4:5], v[28:29], v[6:7], -v[4:5]
	v_mul_f64 v[26:27], v[26:27], s[0:1]
	v_mul_f64 v[28:29], v[4:5], s[0:1]
	v_lshl_add_u64 v[16:17], v[16:17], 0, s[6:7]
	global_store_dwordx4 v[16:17], v[26:29], off
	v_lshl_add_u64 v[16:17], v[16:17], 0, s[6:7]
	s_nop 0
	v_accvgpr_read_b32 v26, a38
	v_accvgpr_read_b32 v28, a40
	;; [unrolled: 1-line block ×4, first 2 shown]
	v_mul_f64 v[4:5], v[28:29], v[24:25]
	v_mul_f64 v[6:7], v[28:29], v[22:23]
	v_fmac_f64_e32 v[4:5], v[26:27], v[22:23]
	v_fma_f64 v[6:7], v[26:27], v[24:25], -v[6:7]
	v_accvgpr_read_b32 v22, a42
	v_mul_f64 v[4:5], v[4:5], s[0:1]
	v_mul_f64 v[6:7], v[6:7], s[0:1]
	v_accvgpr_read_b32 v24, a44
	v_accvgpr_read_b32 v25, a45
	global_store_dwordx4 v[16:17], v[4:7], off
	v_accvgpr_read_b32 v23, a43
	v_lshl_add_u64 v[16:17], v[16:17], 0, s[8:9]
	v_mul_f64 v[4:5], v[24:25], v[2:3]
	v_fmac_f64_e32 v[4:5], v[22:23], v[0:1]
	v_mul_f64 v[0:1], v[24:25], v[0:1]
	v_fma_f64 v[0:1], v[22:23], v[2:3], -v[0:1]
	v_mul_f64 v[4:5], v[4:5], s[0:1]
	v_mul_f64 v[6:7], v[0:1], s[0:1]
	global_store_dwordx4 v[16:17], v[4:7], off
	s_nop 1
	v_accvgpr_read_b32 v4, a46
	v_accvgpr_read_b32 v6, a48
	;; [unrolled: 1-line block ×4, first 2 shown]
	v_mul_f64 v[0:1], v[6:7], v[10:11]
	v_mul_f64 v[2:3], v[6:7], v[8:9]
	v_fmac_f64_e32 v[0:1], v[4:5], v[8:9]
	v_fma_f64 v[2:3], v[4:5], v[10:11], -v[2:3]
	v_accvgpr_read_b32 v6, a50
	v_mul_f64 v[0:1], v[0:1], s[0:1]
	v_mul_f64 v[2:3], v[2:3], s[0:1]
	v_lshl_add_u64 v[4:5], v[16:17], 0, s[6:7]
	v_accvgpr_read_b32 v8, a52
	v_accvgpr_read_b32 v9, a53
	global_store_dwordx4 v[4:5], v[0:3], off
	v_accvgpr_read_b32 v7, a51
	s_nop 0
	v_mul_f64 v[0:1], v[8:9], v[20:21]
	v_mul_f64 v[2:3], v[8:9], v[18:19]
	v_fmac_f64_e32 v[0:1], v[6:7], v[18:19]
	v_fma_f64 v[2:3], v[6:7], v[20:21], -v[2:3]
	v_lshl_add_u64 v[8:9], v[4:5], 0, s[6:7]
	v_accvgpr_read_b32 v16, a54
	ds_read_b128 v[4:7], v100 offset:29600
	v_mul_f64 v[0:1], v[0:1], s[0:1]
	v_mul_f64 v[2:3], v[2:3], s[0:1]
	v_accvgpr_read_b32 v18, a56
	v_accvgpr_read_b32 v19, a57
	global_store_dwordx4 v[8:9], v[0:3], off
	v_accvgpr_read_b32 v17, a55
	v_lshl_add_u64 v[8:9], v[8:9], 0, s[6:7]
	s_waitcnt lgkmcnt(1)
	v_mul_f64 v[0:1], v[18:19], v[14:15]
	v_mul_f64 v[2:3], v[18:19], v[12:13]
	v_fmac_f64_e32 v[0:1], v[16:17], v[12:13]
	v_fma_f64 v[2:3], v[16:17], v[14:15], -v[2:3]
	v_accvgpr_read_b32 v10, a60
	v_mul_f64 v[0:1], v[0:1], s[0:1]
	v_mul_f64 v[2:3], v[2:3], s[0:1]
	v_accvgpr_read_b32 v12, a62
	v_accvgpr_read_b32 v13, a63
	global_store_dwordx4 v[8:9], v[0:3], off
	v_accvgpr_read_b32 v11, a61
	s_waitcnt lgkmcnt(0)
	v_mul_f64 v[0:1], v[12:13], v[6:7]
	v_fmac_f64_e32 v[0:1], v[10:11], v[4:5]
	v_mul_f64 v[2:3], v[0:1], s[0:1]
	v_mul_f64 v[0:1], v[12:13], v[4:5]
	v_fma_f64 v[0:1], v[10:11], v[6:7], -v[0:1]
	v_mul_f64 v[4:5], v[0:1], s[0:1]
	v_lshl_add_u64 v[0:1], v[8:9], 0, s[6:7]
	global_store_dwordx4 v[0:1], v[2:5], off
	s_and_b64 exec, exec, s[2:3]
	s_cbranch_execz .LBB0_31
; %bb.30:
	v_add_co_u32_e32 v2, vcc, 0x1000, v102
	v_lshl_add_u64 v[14:15], s[4:5], 4, v[0:1]
	s_nop 0
	v_addc_co_u32_e32 v3, vcc, 0, v103, vcc
	global_load_dwordx4 v[2:5], v[2:3], off offset:1904
	ds_read_b128 v[6:9], v100 offset:6000
	ds_read_b128 v[10:13], v100 offset:12400
	s_movk_i32 s2, 0x3000
	v_add_co_u32_e32 v16, vcc, s2, v102
	s_movk_i32 s2, 0x4000
	s_nop 0
	v_addc_co_u32_e32 v17, vcc, 0, v103, vcc
	s_waitcnt vmcnt(0) lgkmcnt(1)
	v_mul_f64 v[0:1], v[8:9], v[4:5]
	v_mul_f64 v[4:5], v[6:7], v[4:5]
	v_fmac_f64_e32 v[0:1], v[6:7], v[2:3]
	v_fma_f64 v[2:3], v[2:3], v[8:9], -v[4:5]
	v_mul_f64 v[0:1], v[0:1], s[0:1]
	v_mul_f64 v[2:3], v[2:3], s[0:1]
	global_store_dwordx4 v[14:15], v[0:3], off
	global_load_dwordx4 v[0:3], v[16:17], off offset:112
	v_lshl_add_u64 v[14:15], v[14:15], 0, s[6:7]
	v_add_co_u32_e32 v4, vcc, s2, v102
	s_movk_i32 s2, 0x6000
	s_nop 0
	v_addc_co_u32_e32 v5, vcc, 0, v103, vcc
	s_waitcnt vmcnt(0) lgkmcnt(0)
	v_mul_f64 v[6:7], v[12:13], v[2:3]
	v_mul_f64 v[2:3], v[10:11], v[2:3]
	v_fmac_f64_e32 v[6:7], v[10:11], v[0:1]
	v_fma_f64 v[2:3], v[0:1], v[12:13], -v[2:3]
	v_mul_f64 v[0:1], v[6:7], s[0:1]
	v_mul_f64 v[2:3], v[2:3], s[0:1]
	global_store_dwordx4 v[14:15], v[0:3], off
	global_load_dwordx4 v[0:3], v[4:5], off offset:2416
	ds_read_b128 v[4:7], v100 offset:18800
	ds_read_b128 v[8:11], v100 offset:25200
	v_add_co_u32_e32 v12, vcc, s2, v102
	v_lshl_add_u64 v[14:15], v[14:15], 0, s[6:7]
	s_nop 0
	v_addc_co_u32_e32 v13, vcc, 0, v103, vcc
	s_movk_i32 s2, 0x7000
	s_waitcnt vmcnt(0) lgkmcnt(1)
	v_mul_f64 v[16:17], v[6:7], v[2:3]
	v_mul_f64 v[2:3], v[4:5], v[2:3]
	v_fmac_f64_e32 v[16:17], v[4:5], v[0:1]
	v_fma_f64 v[2:3], v[0:1], v[6:7], -v[2:3]
	v_mul_f64 v[0:1], v[16:17], s[0:1]
	v_mul_f64 v[2:3], v[2:3], s[0:1]
	global_store_dwordx4 v[14:15], v[0:3], off
	global_load_dwordx4 v[0:3], v[12:13], off offset:624
	v_add_co_u32_e32 v4, vcc, s2, v102
	v_lshl_add_u64 v[12:13], v[14:15], 0, s[6:7]
	s_nop 0
	v_addc_co_u32_e32 v5, vcc, 0, v103, vcc
	s_waitcnt vmcnt(0) lgkmcnt(0)
	v_mul_f64 v[6:7], v[10:11], v[2:3]
	v_mul_f64 v[2:3], v[8:9], v[2:3]
	v_fmac_f64_e32 v[6:7], v[8:9], v[0:1]
	v_fma_f64 v[2:3], v[0:1], v[10:11], -v[2:3]
	v_mul_f64 v[0:1], v[6:7], s[0:1]
	v_mul_f64 v[2:3], v[2:3], s[0:1]
	global_store_dwordx4 v[12:13], v[0:3], off
	global_load_dwordx4 v[0:3], v[4:5], off offset:2928
	ds_read_b128 v[4:7], v100 offset:31600
	s_waitcnt vmcnt(0) lgkmcnt(0)
	v_mul_f64 v[8:9], v[6:7], v[2:3]
	v_mul_f64 v[2:3], v[4:5], v[2:3]
	v_fmac_f64_e32 v[8:9], v[4:5], v[0:1]
	v_fma_f64 v[2:3], v[0:1], v[6:7], -v[2:3]
	v_mul_f64 v[0:1], v[8:9], s[0:1]
	v_mul_f64 v[2:3], v[2:3], s[0:1]
	v_lshl_add_u64 v[4:5], v[12:13], 0, s[6:7]
	global_store_dwordx4 v[4:5], v[0:3], off
.LBB0_31:
	s_endpgm
	.section	.rodata,"a",@progbits
	.p2align	6, 0x0
	.amdhsa_kernel bluestein_single_back_len2000_dim1_dp_op_CI_CI
		.amdhsa_group_segment_fixed_size 32000
		.amdhsa_private_segment_fixed_size 0
		.amdhsa_kernarg_size 104
		.amdhsa_user_sgpr_count 2
		.amdhsa_user_sgpr_dispatch_ptr 0
		.amdhsa_user_sgpr_queue_ptr 0
		.amdhsa_user_sgpr_kernarg_segment_ptr 1
		.amdhsa_user_sgpr_dispatch_id 0
		.amdhsa_user_sgpr_kernarg_preload_length 0
		.amdhsa_user_sgpr_kernarg_preload_offset 0
		.amdhsa_user_sgpr_private_segment_size 0
		.amdhsa_uses_dynamic_stack 0
		.amdhsa_enable_private_segment 0
		.amdhsa_system_sgpr_workgroup_id_x 1
		.amdhsa_system_sgpr_workgroup_id_y 0
		.amdhsa_system_sgpr_workgroup_id_z 0
		.amdhsa_system_sgpr_workgroup_info 0
		.amdhsa_system_vgpr_workitem_id 0
		.amdhsa_next_free_vgpr 365
		.amdhsa_next_free_sgpr 22
		.amdhsa_accum_offset 256
		.amdhsa_reserve_vcc 1
		.amdhsa_float_round_mode_32 0
		.amdhsa_float_round_mode_16_64 0
		.amdhsa_float_denorm_mode_32 3
		.amdhsa_float_denorm_mode_16_64 3
		.amdhsa_dx10_clamp 1
		.amdhsa_ieee_mode 1
		.amdhsa_fp16_overflow 0
		.amdhsa_tg_split 0
		.amdhsa_exception_fp_ieee_invalid_op 0
		.amdhsa_exception_fp_denorm_src 0
		.amdhsa_exception_fp_ieee_div_zero 0
		.amdhsa_exception_fp_ieee_overflow 0
		.amdhsa_exception_fp_ieee_underflow 0
		.amdhsa_exception_fp_ieee_inexact 0
		.amdhsa_exception_int_div_zero 0
	.end_amdhsa_kernel
	.text
.Lfunc_end0:
	.size	bluestein_single_back_len2000_dim1_dp_op_CI_CI, .Lfunc_end0-bluestein_single_back_len2000_dim1_dp_op_CI_CI
                                        ; -- End function
	.section	.AMDGPU.csdata,"",@progbits
; Kernel info:
; codeLenInByte = 24424
; NumSgprs: 28
; NumVgprs: 256
; NumAgprs: 109
; TotalNumVgprs: 365
; ScratchSize: 0
; MemoryBound: 0
; FloatMode: 240
; IeeeMode: 1
; LDSByteSize: 32000 bytes/workgroup (compile time only)
; SGPRBlocks: 3
; VGPRBlocks: 45
; NumSGPRsForWavesPerEU: 28
; NumVGPRsForWavesPerEU: 365
; AccumOffset: 256
; Occupancy: 1
; WaveLimiterHint : 1
; COMPUTE_PGM_RSRC2:SCRATCH_EN: 0
; COMPUTE_PGM_RSRC2:USER_SGPR: 2
; COMPUTE_PGM_RSRC2:TRAP_HANDLER: 0
; COMPUTE_PGM_RSRC2:TGID_X_EN: 1
; COMPUTE_PGM_RSRC2:TGID_Y_EN: 0
; COMPUTE_PGM_RSRC2:TGID_Z_EN: 0
; COMPUTE_PGM_RSRC2:TIDIG_COMP_CNT: 0
; COMPUTE_PGM_RSRC3_GFX90A:ACCUM_OFFSET: 63
; COMPUTE_PGM_RSRC3_GFX90A:TG_SPLIT: 0
	.text
	.p2alignl 6, 3212836864
	.fill 256, 4, 3212836864
	.type	__hip_cuid_50fdc12e575b7542,@object ; @__hip_cuid_50fdc12e575b7542
	.section	.bss,"aw",@nobits
	.globl	__hip_cuid_50fdc12e575b7542
__hip_cuid_50fdc12e575b7542:
	.byte	0                               ; 0x0
	.size	__hip_cuid_50fdc12e575b7542, 1

	.ident	"AMD clang version 19.0.0git (https://github.com/RadeonOpenCompute/llvm-project roc-6.4.0 25133 c7fe45cf4b819c5991fe208aaa96edf142730f1d)"
	.section	".note.GNU-stack","",@progbits
	.addrsig
	.addrsig_sym __hip_cuid_50fdc12e575b7542
	.amdgpu_metadata
---
amdhsa.kernels:
  - .agpr_count:     109
    .args:
      - .actual_access:  read_only
        .address_space:  global
        .offset:         0
        .size:           8
        .value_kind:     global_buffer
      - .actual_access:  read_only
        .address_space:  global
        .offset:         8
        .size:           8
        .value_kind:     global_buffer
      - .actual_access:  read_only
        .address_space:  global
        .offset:         16
        .size:           8
        .value_kind:     global_buffer
      - .actual_access:  read_only
        .address_space:  global
        .offset:         24
        .size:           8
        .value_kind:     global_buffer
      - .actual_access:  read_only
        .address_space:  global
        .offset:         32
        .size:           8
        .value_kind:     global_buffer
      - .offset:         40
        .size:           8
        .value_kind:     by_value
      - .address_space:  global
        .offset:         48
        .size:           8
        .value_kind:     global_buffer
      - .address_space:  global
        .offset:         56
        .size:           8
        .value_kind:     global_buffer
      - .address_space:  global
        .offset:         64
        .size:           8
        .value_kind:     global_buffer
      - .address_space:  global
        .offset:         72
        .size:           8
        .value_kind:     global_buffer
      - .offset:         80
        .size:           4
        .value_kind:     by_value
      - .address_space:  global
        .offset:         88
        .size:           8
        .value_kind:     global_buffer
      - .address_space:  global
        .offset:         96
        .size:           8
        .value_kind:     global_buffer
    .group_segment_fixed_size: 32000
    .kernarg_segment_align: 8
    .kernarg_segment_size: 104
    .language:       OpenCL C
    .language_version:
      - 2
      - 0
    .max_flat_workgroup_size: 125
    .name:           bluestein_single_back_len2000_dim1_dp_op_CI_CI
    .private_segment_fixed_size: 0
    .sgpr_count:     28
    .sgpr_spill_count: 0
    .symbol:         bluestein_single_back_len2000_dim1_dp_op_CI_CI.kd
    .uniform_work_group_size: 1
    .uses_dynamic_stack: false
    .vgpr_count:     365
    .vgpr_spill_count: 0
    .wavefront_size: 64
amdhsa.target:   amdgcn-amd-amdhsa--gfx950
amdhsa.version:
  - 1
  - 2
...

	.end_amdgpu_metadata
